;; amdgpu-corpus repo=ROCm/rocFFT kind=compiled arch=gfx906 opt=O3
	.text
	.amdgcn_target "amdgcn-amd-amdhsa--gfx906"
	.amdhsa_code_object_version 6
	.protected	fft_rtc_fwd_len945_factors_3_3_3_5_7_wgs_63_tpt_63_halfLds_dp_op_CI_CI_unitstride_sbrr_dirReg ; -- Begin function fft_rtc_fwd_len945_factors_3_3_3_5_7_wgs_63_tpt_63_halfLds_dp_op_CI_CI_unitstride_sbrr_dirReg
	.globl	fft_rtc_fwd_len945_factors_3_3_3_5_7_wgs_63_tpt_63_halfLds_dp_op_CI_CI_unitstride_sbrr_dirReg
	.p2align	8
	.type	fft_rtc_fwd_len945_factors_3_3_3_5_7_wgs_63_tpt_63_halfLds_dp_op_CI_CI_unitstride_sbrr_dirReg,@function
fft_rtc_fwd_len945_factors_3_3_3_5_7_wgs_63_tpt_63_halfLds_dp_op_CI_CI_unitstride_sbrr_dirReg: ; @fft_rtc_fwd_len945_factors_3_3_3_5_7_wgs_63_tpt_63_halfLds_dp_op_CI_CI_unitstride_sbrr_dirReg
; %bb.0:
	s_load_dwordx4 s[12:15], s[4:5], 0x58
	s_load_dwordx4 s[8:11], s[4:5], 0x0
	;; [unrolled: 1-line block ×3, first 2 shown]
	v_mul_u32_u24_e32 v1, 0x411, v0
	v_add_u32_sdwa v6, s6, v1 dst_sel:DWORD dst_unused:UNUSED_PAD src0_sel:DWORD src1_sel:WORD_1
	v_mov_b32_e32 v1, 0
	s_waitcnt lgkmcnt(0)
	v_cmp_lt_u64_e64 s[0:1], s[10:11], 2
	v_mov_b32_e32 v4, 0
	v_mov_b32_e32 v7, v1
	s_and_b64 vcc, exec, s[0:1]
	v_mov_b32_e32 v5, 0
	s_cbranch_vccnz .LBB0_8
; %bb.1:
	s_load_dwordx2 s[0:1], s[4:5], 0x10
	s_add_u32 s2, s18, 8
	s_addc_u32 s3, s19, 0
	s_add_u32 s6, s16, 8
	v_mov_b32_e32 v4, 0
	s_addc_u32 s7, s17, 0
	v_mov_b32_e32 v5, 0
	s_waitcnt lgkmcnt(0)
	s_add_u32 s20, s0, 8
	v_mov_b32_e32 v101, v5
	s_addc_u32 s21, s1, 0
	s_mov_b64 s[22:23], 1
	v_mov_b32_e32 v100, v4
.LBB0_2:                                ; =>This Inner Loop Header: Depth=1
	s_load_dwordx2 s[24:25], s[20:21], 0x0
                                        ; implicit-def: $vgpr102_vgpr103
	s_waitcnt lgkmcnt(0)
	v_or_b32_e32 v2, s25, v7
	v_cmp_ne_u64_e32 vcc, 0, v[1:2]
	s_and_saveexec_b64 s[0:1], vcc
	s_xor_b64 s[26:27], exec, s[0:1]
	s_cbranch_execz .LBB0_4
; %bb.3:                                ;   in Loop: Header=BB0_2 Depth=1
	v_cvt_f32_u32_e32 v2, s24
	v_cvt_f32_u32_e32 v3, s25
	s_sub_u32 s0, 0, s24
	s_subb_u32 s1, 0, s25
	v_mac_f32_e32 v2, 0x4f800000, v3
	v_rcp_f32_e32 v2, v2
	v_mul_f32_e32 v2, 0x5f7ffffc, v2
	v_mul_f32_e32 v3, 0x2f800000, v2
	v_trunc_f32_e32 v3, v3
	v_mac_f32_e32 v2, 0xcf800000, v3
	v_cvt_u32_f32_e32 v3, v3
	v_cvt_u32_f32_e32 v2, v2
	v_mul_lo_u32 v8, s0, v3
	v_mul_hi_u32 v9, s0, v2
	v_mul_lo_u32 v11, s1, v2
	v_mul_lo_u32 v10, s0, v2
	v_add_u32_e32 v8, v9, v8
	v_add_u32_e32 v8, v8, v11
	v_mul_hi_u32 v9, v2, v10
	v_mul_lo_u32 v11, v2, v8
	v_mul_hi_u32 v13, v2, v8
	v_mul_hi_u32 v12, v3, v10
	v_mul_lo_u32 v10, v3, v10
	v_mul_hi_u32 v14, v3, v8
	v_add_co_u32_e32 v9, vcc, v9, v11
	v_addc_co_u32_e32 v11, vcc, 0, v13, vcc
	v_mul_lo_u32 v8, v3, v8
	v_add_co_u32_e32 v9, vcc, v9, v10
	v_addc_co_u32_e32 v9, vcc, v11, v12, vcc
	v_addc_co_u32_e32 v10, vcc, 0, v14, vcc
	v_add_co_u32_e32 v8, vcc, v9, v8
	v_addc_co_u32_e32 v9, vcc, 0, v10, vcc
	v_add_co_u32_e32 v2, vcc, v2, v8
	v_addc_co_u32_e32 v3, vcc, v3, v9, vcc
	v_mul_lo_u32 v8, s0, v3
	v_mul_hi_u32 v9, s0, v2
	v_mul_lo_u32 v10, s1, v2
	v_mul_lo_u32 v11, s0, v2
	v_add_u32_e32 v8, v9, v8
	v_add_u32_e32 v8, v8, v10
	v_mul_lo_u32 v12, v2, v8
	v_mul_hi_u32 v13, v2, v11
	v_mul_hi_u32 v14, v2, v8
	v_mul_hi_u32 v10, v3, v11
	v_mul_lo_u32 v11, v3, v11
	v_mul_hi_u32 v9, v3, v8
	v_add_co_u32_e32 v12, vcc, v13, v12
	v_addc_co_u32_e32 v13, vcc, 0, v14, vcc
	v_mul_lo_u32 v8, v3, v8
	v_add_co_u32_e32 v11, vcc, v12, v11
	v_addc_co_u32_e32 v10, vcc, v13, v10, vcc
	v_addc_co_u32_e32 v9, vcc, 0, v9, vcc
	v_add_co_u32_e32 v8, vcc, v10, v8
	v_addc_co_u32_e32 v9, vcc, 0, v9, vcc
	v_add_co_u32_e32 v8, vcc, v2, v8
	v_addc_co_u32_e32 v9, vcc, v3, v9, vcc
	v_mad_u64_u32 v[2:3], s[0:1], v6, v9, 0
	v_mul_hi_u32 v10, v6, v8
	v_add_co_u32_e32 v10, vcc, v10, v2
	v_addc_co_u32_e32 v11, vcc, 0, v3, vcc
	v_mad_u64_u32 v[2:3], s[0:1], v7, v8, 0
	v_mad_u64_u32 v[8:9], s[0:1], v7, v9, 0
	v_add_co_u32_e32 v2, vcc, v10, v2
	v_addc_co_u32_e32 v2, vcc, v11, v3, vcc
	v_addc_co_u32_e32 v3, vcc, 0, v9, vcc
	v_add_co_u32_e32 v8, vcc, v2, v8
	v_addc_co_u32_e32 v9, vcc, 0, v3, vcc
	v_mul_lo_u32 v10, s25, v8
	v_mul_lo_u32 v11, s24, v9
	v_mad_u64_u32 v[2:3], s[0:1], s24, v8, 0
	v_add3_u32 v3, v3, v11, v10
	v_sub_u32_e32 v10, v7, v3
	v_mov_b32_e32 v11, s25
	v_sub_co_u32_e32 v2, vcc, v6, v2
	v_subb_co_u32_e64 v10, s[0:1], v10, v11, vcc
	v_subrev_co_u32_e64 v11, s[0:1], s24, v2
	v_subbrev_co_u32_e64 v10, s[0:1], 0, v10, s[0:1]
	v_cmp_le_u32_e64 s[0:1], s25, v10
	v_cndmask_b32_e64 v12, 0, -1, s[0:1]
	v_cmp_le_u32_e64 s[0:1], s24, v11
	v_cndmask_b32_e64 v11, 0, -1, s[0:1]
	v_cmp_eq_u32_e64 s[0:1], s25, v10
	v_cndmask_b32_e64 v10, v12, v11, s[0:1]
	v_add_co_u32_e64 v11, s[0:1], 2, v8
	v_addc_co_u32_e64 v12, s[0:1], 0, v9, s[0:1]
	v_add_co_u32_e64 v13, s[0:1], 1, v8
	v_addc_co_u32_e64 v14, s[0:1], 0, v9, s[0:1]
	v_subb_co_u32_e32 v3, vcc, v7, v3, vcc
	v_cmp_ne_u32_e64 s[0:1], 0, v10
	v_cmp_le_u32_e32 vcc, s25, v3
	v_cndmask_b32_e64 v10, v14, v12, s[0:1]
	v_cndmask_b32_e64 v12, 0, -1, vcc
	v_cmp_le_u32_e32 vcc, s24, v2
	v_cndmask_b32_e64 v2, 0, -1, vcc
	v_cmp_eq_u32_e32 vcc, s25, v3
	v_cndmask_b32_e32 v2, v12, v2, vcc
	v_cmp_ne_u32_e32 vcc, 0, v2
	v_cndmask_b32_e64 v2, v13, v11, s[0:1]
	v_cndmask_b32_e32 v103, v9, v10, vcc
	v_cndmask_b32_e32 v102, v8, v2, vcc
.LBB0_4:                                ;   in Loop: Header=BB0_2 Depth=1
	s_andn2_saveexec_b64 s[0:1], s[26:27]
	s_cbranch_execz .LBB0_6
; %bb.5:                                ;   in Loop: Header=BB0_2 Depth=1
	v_cvt_f32_u32_e32 v2, s24
	s_sub_i32 s26, 0, s24
	v_mov_b32_e32 v103, v1
	v_rcp_iflag_f32_e32 v2, v2
	v_mul_f32_e32 v2, 0x4f7ffffe, v2
	v_cvt_u32_f32_e32 v2, v2
	v_mul_lo_u32 v3, s26, v2
	v_mul_hi_u32 v3, v2, v3
	v_add_u32_e32 v2, v2, v3
	v_mul_hi_u32 v2, v6, v2
	v_mul_lo_u32 v3, v2, s24
	v_add_u32_e32 v8, 1, v2
	v_sub_u32_e32 v3, v6, v3
	v_subrev_u32_e32 v9, s24, v3
	v_cmp_le_u32_e32 vcc, s24, v3
	v_cndmask_b32_e32 v3, v3, v9, vcc
	v_cndmask_b32_e32 v2, v2, v8, vcc
	v_add_u32_e32 v8, 1, v2
	v_cmp_le_u32_e32 vcc, s24, v3
	v_cndmask_b32_e32 v102, v2, v8, vcc
.LBB0_6:                                ;   in Loop: Header=BB0_2 Depth=1
	s_or_b64 exec, exec, s[0:1]
	v_mul_lo_u32 v8, v103, s24
	v_mul_lo_u32 v9, v102, s25
	v_mad_u64_u32 v[2:3], s[0:1], v102, s24, 0
	s_load_dwordx2 s[0:1], s[6:7], 0x0
	s_load_dwordx2 s[24:25], s[2:3], 0x0
	v_add3_u32 v3, v3, v9, v8
	v_sub_co_u32_e32 v2, vcc, v6, v2
	v_subb_co_u32_e32 v3, vcc, v7, v3, vcc
	s_waitcnt lgkmcnt(0)
	v_mul_lo_u32 v6, s0, v3
	v_mul_lo_u32 v7, s1, v2
	v_mad_u64_u32 v[4:5], s[0:1], s0, v2, v[4:5]
	v_mul_lo_u32 v3, s24, v3
	v_mul_lo_u32 v8, s25, v2
	v_mad_u64_u32 v[100:101], s[0:1], s24, v2, v[100:101]
	s_add_u32 s22, s22, 1
	s_addc_u32 s23, s23, 0
	s_add_u32 s2, s2, 8
	v_add3_u32 v101, v8, v101, v3
	s_addc_u32 s3, s3, 0
	v_mov_b32_e32 v2, s10
	s_add_u32 s6, s6, 8
	v_mov_b32_e32 v3, s11
	s_addc_u32 s7, s7, 0
	v_cmp_ge_u64_e32 vcc, s[22:23], v[2:3]
	s_add_u32 s20, s20, 8
	v_add3_u32 v5, v7, v5, v6
	s_addc_u32 s21, s21, 0
	s_cbranch_vccnz .LBB0_9
; %bb.7:                                ;   in Loop: Header=BB0_2 Depth=1
	v_mov_b32_e32 v6, v102
	v_mov_b32_e32 v7, v103
	s_branch .LBB0_2
.LBB0_8:
	v_mov_b32_e32 v101, v5
	v_mov_b32_e32 v103, v7
	;; [unrolled: 1-line block ×4, first 2 shown]
.LBB0_9:
	s_load_dwordx2 s[0:1], s[4:5], 0x28
	s_lshl_b64 s[6:7], s[10:11], 3
	s_add_u32 s2, s18, s6
	s_addc_u32 s3, s19, s7
                                        ; implicit-def: $vgpr108
	s_waitcnt lgkmcnt(0)
	v_cmp_gt_u64_e32 vcc, s[0:1], v[102:103]
	v_cmp_le_u64_e64 s[0:1], s[0:1], v[102:103]
	s_and_saveexec_b64 s[4:5], s[0:1]
	s_xor_b64 s[0:1], exec, s[4:5]
; %bb.10:
	s_mov_b32 s4, 0x4104105
	v_mul_hi_u32 v1, v0, s4
                                        ; implicit-def: $vgpr4_vgpr5
	v_mul_u32_u24_e32 v1, 63, v1
	v_sub_u32_e32 v108, v0, v1
                                        ; implicit-def: $vgpr0
; %bb.11:
	s_or_saveexec_b64 s[4:5], s[0:1]
                                        ; implicit-def: $vgpr38_vgpr39
                                        ; implicit-def: $vgpr30_vgpr31
                                        ; implicit-def: $vgpr18_vgpr19
                                        ; implicit-def: $vgpr34_vgpr35
                                        ; implicit-def: $vgpr26_vgpr27
                                        ; implicit-def: $vgpr10_vgpr11
                                        ; implicit-def: $vgpr46_vgpr47
                                        ; implicit-def: $vgpr6_vgpr7
                                        ; implicit-def: $vgpr42_vgpr43
                                        ; implicit-def: $vgpr50_vgpr51
                                        ; implicit-def: $vgpr14_vgpr15
                                        ; implicit-def: $vgpr2_vgpr3
                                        ; implicit-def: $vgpr54_vgpr55
                                        ; implicit-def: $vgpr58_vgpr59
                                        ; implicit-def: $vgpr22_vgpr23
	s_xor_b64 exec, exec, s[4:5]
	s_cbranch_execz .LBB0_13
; %bb.12:
	s_add_u32 s0, s16, s6
	s_addc_u32 s1, s17, s7
	s_load_dwordx2 s[0:1], s[0:1], 0x0
	s_mov_b32 s6, 0x4104105
	v_mul_hi_u32 v3, v0, s6
	s_waitcnt lgkmcnt(0)
	v_mul_lo_u32 v6, s1, v102
	v_mul_lo_u32 v7, s0, v103
	v_mad_u64_u32 v[1:2], s[0:1], s0, v102, 0
	v_mul_u32_u24_e32 v3, 63, v3
	v_sub_u32_e32 v108, v0, v3
	v_add3_u32 v2, v2, v7, v6
	v_lshlrev_b64 v[0:1], 4, v[1:2]
	v_mov_b32_e32 v2, s13
	v_add_co_u32_e64 v3, s[0:1], s12, v0
	v_addc_co_u32_e64 v2, s[0:1], v2, v1, s[0:1]
	v_lshlrev_b64 v[0:1], 4, v[4:5]
	v_add_co_u32_e64 v0, s[0:1], v3, v0
	v_addc_co_u32_e64 v1, s[0:1], v2, v1, s[0:1]
	v_lshlrev_b32_e32 v2, 4, v108
	v_add_co_u32_e64 v60, s[0:1], v0, v2
	v_addc_co_u32_e64 v61, s[0:1], 0, v1, s[0:1]
	s_movk_i32 s0, 0x1000
	v_add_co_u32_e64 v62, s[0:1], s0, v60
	v_addc_co_u32_e64 v63, s[0:1], 0, v61, s[0:1]
	s_movk_i32 s0, 0x2000
	;; [unrolled: 3-line block ×3, first 2 shown]
	v_add_co_u32_e64 v66, s[0:1], s0, v60
	global_load_dwordx4 v[20:23], v[60:61], off
	global_load_dwordx4 v[0:3], v[60:61], off offset:1008
	global_load_dwordx4 v[12:15], v[62:63], off offset:1952
	;; [unrolled: 1-line block ×3, first 2 shown]
	v_addc_co_u32_e64 v67, s[0:1], 0, v61, s[0:1]
	global_load_dwordx4 v[40:43], v[60:61], off offset:2016
	global_load_dwordx4 v[8:11], v[60:61], off offset:3024
	global_load_dwordx4 v[56:59], v[62:63], off offset:944
	global_load_dwordx4 v[16:19], v[60:61], off offset:4032
	global_load_dwordx4 v[52:55], v[64:65], off offset:1888
	global_load_dwordx4 v[48:51], v[64:65], off offset:2896
	global_load_dwordx4 v[24:27], v[62:63], off offset:3968
	global_load_dwordx4 v[28:31], v[64:65], off offset:880
	global_load_dwordx4 v[44:47], v[64:65], off offset:3904
	global_load_dwordx4 v[32:35], v[66:67], off offset:816
	global_load_dwordx4 v[36:39], v[66:67], off offset:1824
.LBB0_13:
	s_or_b64 exec, exec, s[4:5]
	s_waitcnt vmcnt(6)
	v_add_f64 v[60:61], v[52:53], v[56:57]
	v_add_f64 v[62:63], v[56:57], v[20:21]
	v_add_f64 v[64:65], v[58:59], -v[54:55]
	v_add_f64 v[66:67], v[54:55], v[58:59]
	v_add_f64 v[58:59], v[58:59], v[22:23]
	s_mov_b32 s0, 0xe8584caa
	s_mov_b32 s1, 0x3febb67a
	;; [unrolled: 1-line block ×3, first 2 shown]
	v_fma_f64 v[20:21], v[60:61], -0.5, v[20:21]
	s_waitcnt vmcnt(5)
	v_add_f64 v[60:61], v[48:49], v[12:13]
	s_mov_b32 s4, s0
	v_add_f64 v[56:57], v[56:57], -v[52:53]
	v_add_f64 v[52:53], v[52:53], v[62:63]
	v_fma_f64 v[22:23], v[66:67], -0.5, v[22:23]
	v_add_f64 v[54:55], v[54:55], v[58:59]
	v_add_f64 v[58:59], v[50:51], v[14:15]
	v_fma_f64 v[62:63], v[64:65], s[0:1], v[20:21]
	v_fma_f64 v[20:21], v[64:65], s[4:5], v[20:21]
	v_add_f64 v[64:65], v[12:13], v[0:1]
	v_fma_f64 v[0:1], v[60:61], -0.5, v[0:1]
	v_add_f64 v[60:61], v[14:15], -v[50:51]
	v_add_f64 v[14:15], v[14:15], v[2:3]
	v_fma_f64 v[66:67], v[56:57], s[4:5], v[22:23]
	v_fma_f64 v[56:57], v[56:57], s[0:1], v[22:23]
	v_fma_f64 v[2:3], v[58:59], -0.5, v[2:3]
	v_add_f64 v[12:13], v[12:13], -v[48:49]
	v_add_f64 v[22:23], v[48:49], v[64:65]
	s_waitcnt vmcnt(2)
	v_add_f64 v[64:65], v[44:45], v[4:5]
	v_add_f64 v[58:59], v[4:5], v[40:41]
	;; [unrolled: 1-line block ×4, first 2 shown]
	s_waitcnt vmcnt(1)
	v_add_f64 v[68:69], v[32:33], v[24:25]
	v_fma_f64 v[48:49], v[60:61], s[0:1], v[0:1]
	v_fma_f64 v[0:1], v[60:61], s[4:5], v[0:1]
	v_add_f64 v[60:61], v[6:7], -v[46:47]
	v_fma_f64 v[40:41], v[64:65], -0.5, v[40:41]
	v_fma_f64 v[64:65], v[12:13], s[4:5], v[2:3]
	v_fma_f64 v[2:3], v[12:13], s[0:1], v[2:3]
	v_add_f64 v[6:7], v[6:7], v[42:43]
	v_fma_f64 v[12:13], v[14:15], -0.5, v[42:43]
	v_add_f64 v[4:5], v[4:5], -v[44:45]
	v_add_f64 v[14:15], v[44:45], v[58:59]
	v_add_f64 v[44:45], v[24:25], v[8:9]
	v_fma_f64 v[8:9], v[68:69], -0.5, v[8:9]
	v_add_f64 v[58:59], v[26:27], -v[34:35]
	v_fma_f64 v[42:43], v[60:61], s[0:1], v[40:41]
	v_fma_f64 v[40:41], v[60:61], s[4:5], v[40:41]
	v_add_f64 v[46:47], v[46:47], v[6:7]
	v_fma_f64 v[60:61], v[4:5], s[4:5], v[12:13]
	v_add_f64 v[6:7], v[34:35], v[26:27]
	v_fma_f64 v[68:69], v[4:5], s[0:1], v[12:13]
	s_waitcnt vmcnt(0)
	v_add_f64 v[12:13], v[36:37], v[28:29]
	v_add_f64 v[4:5], v[32:33], v[44:45]
	v_fma_f64 v[44:45], v[58:59], s[0:1], v[8:9]
	v_fma_f64 v[8:9], v[58:59], s[4:5], v[8:9]
	v_add_f64 v[58:59], v[38:39], v[30:31]
	v_add_f64 v[26:27], v[26:27], v[10:11]
	v_fma_f64 v[6:7], v[6:7], -0.5, v[10:11]
	v_add_f64 v[10:11], v[24:25], -v[32:33]
	v_add_f64 v[24:25], v[28:29], v[16:17]
	v_fma_f64 v[12:13], v[12:13], -0.5, v[16:17]
	v_add_f64 v[16:17], v[30:31], -v[38:39]
	;; [unrolled: 3-line block ×3, first 2 shown]
	v_add_f64 v[58:59], v[34:35], v[26:27]
	v_fma_f64 v[70:71], v[10:11], s[4:5], v[6:7]
	v_fma_f64 v[72:73], v[10:11], s[0:1], v[6:7]
	v_add_f64 v[6:7], v[36:37], v[24:25]
	v_fma_f64 v[10:11], v[16:17], s[0:1], v[12:13]
	v_fma_f64 v[12:13], v[16:17], s[4:5], v[12:13]
	v_add_f64 v[35:36], v[38:39], v[30:31]
	v_mad_u32_u24 v39, v108, 24, 0
	s_load_dwordx2 s[2:3], s[2:3], 0x0
	ds_write2_b64 v39, v[52:53], v[62:63] offset1:1
	ds_write2_b64 v39, v[22:23], v[48:49] offset0:189 offset1:190
	ds_write2_b64 v39, v[20:21], v[0:1] offset0:2 offset1:191
	v_add_u32_e32 v0, 0xbd0, v39
	v_add_u32_e32 v1, 0x11b8, v39
	ds_write2_b64 v0, v[14:15], v[42:43] offset1:1
	ds_write2_b64 v1, v[4:5], v[44:45] offset1:1
	v_add_u32_e32 v42, 0xa00, v39
	v_lshlrev_b32_e32 v4, 4, v108
	v_fma_f64 v[37:38], v[28:29], s[4:5], v[18:19]
	ds_write2_b64 v42, v[40:41], v[8:9] offset0:60 offset1:249
	v_add_u32_e32 v40, 0x17a0, v39
	v_sub_u32_e32 v94, v39, v4
	v_fma_f64 v[74:75], v[28:29], s[0:1], v[18:19]
	ds_write2_b64 v40, v[6:7], v[10:11] offset1:1
	ds_write_b64 v39, v[12:13] offset:6064
	v_add_u32_e32 v6, 0x400, v94
	v_add_u32_e32 v95, 0x1000, v94
	;; [unrolled: 1-line block ×5, first 2 shown]
	s_movk_i32 s6, 0xab
	s_waitcnt lgkmcnt(0)
	; wave barrier
	s_waitcnt lgkmcnt(0)
	ds_read2_b64 v[7:10], v94 offset1:63
	ds_read2_b64 v[11:14], v6 offset0:124 offset1:187
	ds_read2_b64 v[15:18], v95 offset0:118 offset1:181
	;; [unrolled: 1-line block ×6, first 2 shown]
	ds_read_b64 v[83:84], v94 offset:7056
	s_waitcnt lgkmcnt(0)
	; wave barrier
	s_waitcnt lgkmcnt(0)
	ds_write2_b64 v39, v[54:55], v[66:67] offset1:1
	ds_write2_b64 v39, v[50:51], v[64:65] offset0:189 offset1:190
	ds_write2_b64 v39, v[56:57], v[2:3] offset0:2 offset1:191
	ds_write2_b64 v0, v[46:47], v[60:61] offset1:1
	ds_write2_b64 v1, v[58:59], v[70:71] offset1:1
	ds_write2_b64 v42, v[68:69], v[72:73] offset0:60 offset1:249
	ds_write2_b64 v40, v[35:36], v[37:38] offset1:1
	ds_write_b64 v39, v[74:75] offset:6064
	v_mul_lo_u16_sdwa v0, v108, s6 dst_sel:DWORD dst_unused:UNUSED_PAD src0_sel:BYTE_0 src1_sel:DWORD
	v_lshrrev_b16_e32 v3, 9, v0
	v_mul_lo_u16_e32 v0, 3, v3
	v_sub_u16_e32 v89, v108, v0
	v_mov_b32_e32 v0, 5
	v_lshlrev_b32_sdwa v1, v0, v89 dst_sel:DWORD dst_unused:UNUSED_PAD src0_sel:DWORD src1_sel:BYTE_0
	s_waitcnt lgkmcnt(0)
	; wave barrier
	s_waitcnt lgkmcnt(0)
	global_load_dwordx4 v[35:38], v1, s[8:9] offset:16
	v_add_u32_e32 v96, 63, v108
	v_mul_lo_u16_sdwa v2, v96, s6 dst_sel:DWORD dst_unused:UNUSED_PAD src0_sel:BYTE_0 src1_sel:DWORD
	v_lshrrev_b16_e32 v90, 9, v2
	v_mul_lo_u16_e32 v2, 3, v90
	v_sub_u16_e32 v91, v96, v2
	v_lshlrev_b32_sdwa v2, v0, v91 dst_sel:DWORD dst_unused:UNUSED_PAD src0_sel:DWORD src1_sel:BYTE_0
	global_load_dwordx4 v[39:42], v2, s[8:9]
	global_load_dwordx4 v[43:46], v2, s[8:9] offset:16
	v_add_u32_e32 v109, 0x7e, v108
	v_mul_lo_u16_sdwa v2, v109, s6 dst_sel:DWORD dst_unused:UNUSED_PAD src0_sel:BYTE_0 src1_sel:DWORD
	v_lshrrev_b16_e32 v92, 9, v2
	v_mul_lo_u16_e32 v2, 3, v92
	v_sub_u16_e32 v93, v109, v2
	v_lshlrev_b32_sdwa v2, v0, v93 dst_sel:DWORD dst_unused:UNUSED_PAD src0_sel:DWORD src1_sel:BYTE_0
	global_load_dwordx4 v[47:50], v2, s[8:9]
	global_load_dwordx4 v[51:54], v2, s[8:9] offset:16
	v_add_u16_e32 v98, 0xbd, v108
	v_mul_lo_u16_sdwa v2, v98, s6 dst_sel:DWORD dst_unused:UNUSED_PAD src0_sel:BYTE_0 src1_sel:DWORD
	v_lshrrev_b16_e32 v99, 9, v2
	v_mul_lo_u16_e32 v2, 3, v99
	v_sub_u16_e32 v104, v98, v2
	v_lshlrev_b32_sdwa v2, v0, v104 dst_sel:DWORD dst_unused:UNUSED_PAD src0_sel:DWORD src1_sel:BYTE_0
	global_load_dwordx4 v[55:58], v2, s[8:9] offset:16
	global_load_dwordx4 v[59:62], v1, s[8:9]
	global_load_dwordx4 v[63:66], v2, s[8:9]
	v_add_u32_e32 v105, 0xfc, v108
	s_mov_b32 s6, 0xaaab
	v_mul_u32_u24_sdwa v1, v105, s6 dst_sel:DWORD dst_unused:UNUSED_PAD src0_sel:WORD_0 src1_sel:DWORD
	v_lshrrev_b32_e32 v106, 17, v1
	v_mul_lo_u16_e32 v1, 3, v106
	v_sub_u16_e32 v107, v105, v1
	v_lshlrev_b32_e32 v1, 5, v107
	global_load_dwordx4 v[67:70], v1, s[8:9]
	global_load_dwordx4 v[71:74], v1, s[8:9] offset:16
	ds_read2_b64 v[75:78], v95 offset0:118 offset1:181
	ds_read2_b64 v[79:82], v97 offset0:122 offset1:185
	v_mul_u32_u24_e32 v3, 0x48, v3
	s_mov_b32 s6, 0xe38f
	s_mov_b32 s10, 0x134454ff
	;; [unrolled: 1-line block ×6, first 2 shown]
	s_waitcnt vmcnt(9) lgkmcnt(1)
	v_mul_f64 v[1:2], v[75:76], v[37:38]
	v_mul_f64 v[37:38], v[15:16], v[37:38]
	s_waitcnt vmcnt(8) lgkmcnt(0)
	v_mul_f64 v[85:86], v[79:80], v[41:42]
	v_mul_f64 v[41:42], v[19:20], v[41:42]
	s_waitcnt vmcnt(7)
	v_mul_f64 v[87:88], v[77:78], v[45:46]
	v_fma_f64 v[1:2], v[15:16], v[35:36], -v[1:2]
	v_mul_f64 v[15:16], v[17:18], v[45:46]
	v_fma_f64 v[45:46], v[75:76], v[35:36], v[37:38]
	ds_read2_b64 v[35:38], v4 offset0:116 offset1:179
	v_fma_f64 v[75:76], v[19:20], v[39:40], -v[85:86]
	s_waitcnt vmcnt(6)
	v_mul_f64 v[19:20], v[81:82], v[49:50]
	v_mul_f64 v[49:50], v[21:22], v[49:50]
	v_fma_f64 v[39:40], v[79:80], v[39:40], v[41:42]
	v_fma_f64 v[41:42], v[17:18], v[43:44], -v[87:88]
	v_fma_f64 v[43:44], v[77:78], v[43:44], v[15:16]
	ds_read2_b64 v[15:18], v6 offset0:124 offset1:187
	s_waitcnt vmcnt(5) lgkmcnt(1)
	v_mul_f64 v[77:78], v[35:36], v[53:54]
	v_mul_f64 v[53:54], v[27:28], v[53:54]
	v_fma_f64 v[85:86], v[21:22], v[47:48], -v[19:20]
	v_fma_f64 v[47:48], v[81:82], v[47:48], v[49:50]
	s_waitcnt vmcnt(3) lgkmcnt(0)
	v_mul_f64 v[49:50], v[17:18], v[61:62]
	v_mul_f64 v[79:80], v[37:38], v[57:58]
	ds_read2_b64 v[19:22], v5 offset0:120 offset1:183
	v_mul_f64 v[57:58], v[29:30], v[57:58]
	v_fma_f64 v[77:78], v[27:28], v[51:52], -v[77:78]
	v_fma_f64 v[35:36], v[35:36], v[51:52], v[53:54]
	s_waitcnt vmcnt(2)
	v_mul_f64 v[53:54], v[31:32], v[65:66]
	s_waitcnt lgkmcnt(0)
	v_mul_f64 v[27:28], v[19:20], v[65:66]
	v_fma_f64 v[49:50], v[13:14], v[59:60], -v[49:50]
	v_mul_f64 v[13:14], v[13:14], v[61:62]
	v_fma_f64 v[51:52], v[29:30], v[55:56], -v[79:80]
	ds_read_b64 v[29:30], v94 offset:7056
	v_fma_f64 v[37:38], v[37:38], v[55:56], v[57:58]
	s_waitcnt vmcnt(1)
	v_mul_f64 v[55:56], v[21:22], v[69:70]
	v_mul_f64 v[57:58], v[33:34], v[69:70]
	s_waitcnt vmcnt(0)
	v_mul_f64 v[65:66], v[83:84], v[73:74]
	s_waitcnt lgkmcnt(0)
	v_mul_f64 v[61:62], v[29:30], v[73:74]
	v_fma_f64 v[31:32], v[31:32], v[63:64], -v[27:28]
	v_add_f64 v[27:28], v[49:50], v[1:2]
	v_fma_f64 v[13:14], v[17:18], v[59:60], v[13:14]
	v_fma_f64 v[53:54], v[19:20], v[63:64], v[53:54]
	v_fma_f64 v[33:34], v[33:34], v[67:68], -v[55:56]
	v_fma_f64 v[21:22], v[21:22], v[67:68], v[57:58]
	v_fma_f64 v[57:58], v[29:30], v[71:72], v[65:66]
	v_fma_f64 v[55:56], v[83:84], v[71:72], -v[61:62]
	v_add_f64 v[29:30], v[7:8], v[49:50]
	v_fma_f64 v[59:60], v[27:28], -0.5, v[7:8]
	v_add_f64 v[61:62], v[13:14], -v[45:46]
	v_add_f64 v[65:66], v[13:14], v[45:46]
	ds_read2_b64 v[17:20], v94 offset1:63
	v_add_f64 v[69:70], v[75:76], v[41:42]
	v_mov_b32_e32 v7, 3
	v_lshlrev_b32_sdwa v8, v7, v89 dst_sel:DWORD dst_unused:UNUSED_PAD src0_sel:DWORD src1_sel:BYTE_0
	v_add_f64 v[63:64], v[29:30], v[1:2]
	s_waitcnt lgkmcnt(0)
	v_add_f64 v[13:14], v[17:18], v[13:14]
	v_fma_f64 v[67:68], v[61:62], s[0:1], v[59:60]
	v_add_f64 v[1:2], v[49:50], -v[1:2]
	v_fma_f64 v[17:18], v[65:66], -0.5, v[17:18]
	v_add3_u32 v3, 0, v3, v8
	v_fma_f64 v[49:50], v[61:62], s[4:5], v[59:60]
	v_fma_f64 v[59:60], v[69:70], -0.5, v[9:10]
	v_add_f64 v[8:9], v[9:10], v[75:76]
	v_add_f64 v[45:46], v[13:14], v[45:46]
	;; [unrolled: 1-line block ×3, first 2 shown]
	v_add_f64 v[61:62], v[39:40], -v[43:44]
	ds_read2_b64 v[27:30], v94 offset0:126 offset1:189
	s_waitcnt lgkmcnt(0)
	; wave barrier
	s_waitcnt lgkmcnt(0)
	ds_write2_b64 v3, v[63:64], v[67:68] offset1:3
	v_fma_f64 v[63:64], v[1:2], s[4:5], v[17:18]
	v_fma_f64 v[1:2], v[1:2], s[0:1], v[17:18]
	v_add_f64 v[17:18], v[19:20], v[39:40]
	v_add_f64 v[39:40], v[85:86], v[77:78]
	v_fma_f64 v[13:14], v[13:14], -0.5, v[19:20]
	v_add_f64 v[19:20], v[75:76], -v[41:42]
	v_add_f64 v[8:9], v[8:9], v[41:42]
	v_fma_f64 v[41:42], v[61:62], s[0:1], v[59:60]
	v_fma_f64 v[59:60], v[61:62], s[4:5], v[59:60]
	v_add_f64 v[61:62], v[47:48], v[35:36]
	v_add_f64 v[43:44], v[17:18], v[43:44]
	v_fma_f64 v[17:18], v[39:40], -0.5, v[23:24]
	v_add_f64 v[39:40], v[47:48], -v[35:36]
	v_add_f64 v[47:48], v[27:28], v[47:48]
	v_fma_f64 v[65:66], v[19:20], s[4:5], v[13:14]
	v_add_f64 v[67:68], v[85:86], -v[77:78]
	v_add_f64 v[69:70], v[25:26], v[31:32]
	v_fma_f64 v[27:28], v[61:62], -0.5, v[27:28]
	v_fma_f64 v[61:62], v[19:20], s[0:1], v[13:14]
	v_add_f64 v[13:14], v[31:32], v[51:52]
	v_fma_f64 v[19:20], v[39:40], s[0:1], v[17:18]
	v_fma_f64 v[17:18], v[39:40], s[4:5], v[17:18]
	v_add_f64 v[39:40], v[47:48], v[35:36]
	v_add_f64 v[35:36], v[53:54], v[37:38]
	;; [unrolled: 1-line block ×3, first 2 shown]
	v_fma_f64 v[47:48], v[67:68], s[4:5], v[27:28]
	v_fma_f64 v[67:68], v[67:68], s[0:1], v[27:28]
	v_fma_f64 v[13:14], v[13:14], -0.5, v[25:26]
	v_add_f64 v[25:26], v[53:54], -v[37:38]
	v_add_f64 v[27:28], v[33:34], v[55:56]
	v_add_f64 v[69:70], v[69:70], v[51:52]
	v_fma_f64 v[35:36], v[35:36], -0.5, v[29:30]
	v_add_f64 v[29:30], v[29:30], v[53:54]
	v_add_f64 v[53:54], v[21:22], v[57:58]
	v_add_f64 v[31:32], v[31:32], -v[51:52]
	v_add_f64 v[23:24], v[23:24], v[77:78]
	v_fma_f64 v[51:52], v[25:26], s[0:1], v[13:14]
	v_fma_f64 v[13:14], v[25:26], s[4:5], v[13:14]
	v_fma_f64 v[25:26], v[27:28], -0.5, v[11:12]
	v_add_f64 v[10:11], v[11:12], v[33:34]
	v_add_f64 v[27:28], v[21:22], -v[57:58]
	v_fma_f64 v[53:54], v[53:54], -0.5, v[15:16]
	v_add_f64 v[15:16], v[15:16], v[21:22]
	v_add_f64 v[21:22], v[33:34], -v[55:56]
	v_add_f64 v[37:38], v[29:30], v[37:38]
	v_mul_u32_u24_e32 v12, 0x48, v90
	v_fma_f64 v[71:72], v[31:32], s[4:5], v[35:36]
	v_add_f64 v[10:11], v[10:11], v[55:56]
	v_fma_f64 v[29:30], v[27:28], s[0:1], v[25:26]
	v_fma_f64 v[25:26], v[27:28], s[4:5], v[25:26]
	v_add_f64 v[55:56], v[15:16], v[57:58]
	v_lshlrev_b32_sdwa v15, v7, v91 dst_sel:DWORD dst_unused:UNUSED_PAD src0_sel:DWORD src1_sel:BYTE_0
	v_fma_f64 v[73:74], v[31:32], s[0:1], v[35:36]
	v_add3_u32 v36, 0, v12, v15
	ds_write_b64 v3, v[49:50] offset:48
	ds_write2_b64 v36, v[8:9], v[41:42] offset1:3
	ds_write_b64 v36, v[59:60] offset:48
	v_mul_u32_u24_e32 v8, 0x48, v92
	v_lshlrev_b32_sdwa v9, v7, v93 dst_sel:DWORD dst_unused:UNUSED_PAD src0_sel:DWORD src1_sel:BYTE_0
	v_add3_u32 v41, 0, v8, v9
	v_mul_u32_u24_e32 v8, 0x48, v99
	v_lshlrev_b32_sdwa v9, v7, v104 dst_sel:DWORD dst_unused:UNUSED_PAD src0_sel:DWORD src1_sel:BYTE_0
	v_add3_u32 v42, 0, v8, v9
	v_mul_u32_u24_e32 v8, 0x48, v106
	v_lshlrev_b32_e32 v9, 3, v107
	v_add3_u32 v49, 0, v8, v9
	v_fma_f64 v[57:58], v[21:22], s[4:5], v[53:54]
	v_fma_f64 v[53:54], v[21:22], s[0:1], v[53:54]
	ds_write2_b64 v41, v[23:24], v[19:20] offset1:3
	ds_write_b64 v41, v[17:18] offset:48
	ds_write2_b64 v42, v[69:70], v[51:52] offset1:3
	ds_write_b64 v42, v[13:14] offset:48
	;; [unrolled: 2-line block ×3, first 2 shown]
	s_waitcnt lgkmcnt(0)
	; wave barrier
	s_waitcnt lgkmcnt(0)
	ds_read2_b64 v[8:11], v94 offset1:63
	ds_read2_b64 v[12:15], v6 offset0:124 offset1:187
	ds_read2_b64 v[16:19], v95 offset0:118 offset1:181
	;; [unrolled: 1-line block ×6, first 2 shown]
	ds_read_b64 v[80:81], v94 offset:7056
	s_waitcnt lgkmcnt(0)
	; wave barrier
	s_waitcnt lgkmcnt(0)
	ds_write2_b64 v3, v[45:46], v[63:64] offset1:3
	ds_write_b64 v3, v[1:2] offset:48
	ds_write2_b64 v36, v[43:44], v[65:66] offset1:3
	ds_write_b64 v36, v[61:62] offset:48
	;; [unrolled: 2-line block ×5, first 2 shown]
	v_mov_b32_e32 v1, 57
	v_mul_lo_u16_sdwa v2, v108, v1 dst_sel:DWORD dst_unused:UNUSED_PAD src0_sel:BYTE_0 src1_sel:DWORD
	v_lshrrev_b16_e32 v88, 9, v2
	v_mul_lo_u16_sdwa v3, v96, v1 dst_sel:DWORD dst_unused:UNUSED_PAD src0_sel:BYTE_0 src1_sel:DWORD
	v_mul_lo_u16_e32 v2, 9, v88
	v_lshrrev_b16_e32 v90, 9, v3
	v_sub_u16_e32 v89, v108, v2
	v_mul_lo_u16_e32 v3, 9, v90
	v_lshlrev_b32_sdwa v2, v0, v89 dst_sel:DWORD dst_unused:UNUSED_PAD src0_sel:DWORD src1_sel:BYTE_0
	v_sub_u16_e32 v91, v96, v3
	s_waitcnt lgkmcnt(0)
	; wave barrier
	s_waitcnt lgkmcnt(0)
	global_load_dwordx4 v[36:39], v2, s[8:9] offset:112
	v_lshlrev_b32_sdwa v3, v0, v91 dst_sel:DWORD dst_unused:UNUSED_PAD src0_sel:DWORD src1_sel:BYTE_0
	global_load_dwordx4 v[40:43], v3, s[8:9] offset:112
	global_load_dwordx4 v[44:47], v3, s[8:9] offset:96
	v_mul_lo_u16_sdwa v3, v109, v1 dst_sel:DWORD dst_unused:UNUSED_PAD src0_sel:BYTE_0 src1_sel:DWORD
	v_lshrrev_b16_e32 v92, 9, v3
	v_mul_lo_u16_e32 v3, 9, v92
	v_sub_u16_e32 v93, v109, v3
	v_lshlrev_b32_sdwa v3, v0, v93 dst_sel:DWORD dst_unused:UNUSED_PAD src0_sel:DWORD src1_sel:BYTE_0
	global_load_dwordx4 v[48:51], v3, s[8:9] offset:96
	global_load_dwordx4 v[52:55], v2, s[8:9] offset:96
	global_load_dwordx4 v[56:59], v3, s[8:9] offset:112
	v_mul_lo_u16_sdwa v1, v98, v1 dst_sel:DWORD dst_unused:UNUSED_PAD src0_sel:BYTE_0 src1_sel:DWORD
	v_lshrrev_b16_e32 v99, 9, v1
	v_mul_lo_u16_e32 v1, 9, v99
	v_sub_u16_e32 v98, v98, v1
	v_lshlrev_b32_sdwa v64, v0, v98 dst_sel:DWORD dst_unused:UNUSED_PAD src0_sel:DWORD src1_sel:BYTE_0
	global_load_dwordx4 v[0:3], v64, s[8:9] offset:112
	global_load_dwordx4 v[60:63], v64, s[8:9] offset:96
	v_mul_u32_u24_sdwa v64, v105, s6 dst_sel:DWORD dst_unused:UNUSED_PAD src0_sel:WORD_0 src1_sel:DWORD
	v_lshrrev_b32_e32 v104, 19, v64
	v_mul_lo_u16_e32 v64, 9, v104
	v_sub_u16_e32 v105, v105, v64
	v_lshlrev_b32_e32 v72, 5, v105
	global_load_dwordx4 v[64:67], v72, s[8:9] offset:96
	global_load_dwordx4 v[68:71], v72, s[8:9] offset:112
	ds_read2_b64 v[72:75], v95 offset0:118 offset1:181
	ds_read2_b64 v[76:79], v97 offset0:122 offset1:185
	s_mov_b32 s6, 0x372fe950
	s_mov_b32 s7, 0x3fd3c6ef
	s_waitcnt vmcnt(9) lgkmcnt(1)
	v_mul_f64 v[82:83], v[72:73], v[38:39]
	v_mul_f64 v[38:39], v[16:17], v[38:39]
	s_waitcnt vmcnt(8)
	v_mul_f64 v[84:85], v[74:75], v[42:43]
	v_mul_f64 v[42:43], v[18:19], v[42:43]
	s_waitcnt vmcnt(7) lgkmcnt(0)
	v_mul_f64 v[86:87], v[76:77], v[46:47]
	v_mul_f64 v[46:47], v[20:21], v[46:47]
	v_fma_f64 v[82:83], v[16:17], v[36:37], -v[82:83]
	v_fma_f64 v[72:73], v[72:73], v[36:37], v[38:39]
	v_fma_f64 v[84:85], v[18:19], v[40:41], -v[84:85]
	ds_read2_b64 v[16:19], v4 offset0:116 offset1:179
	ds_read2_b64 v[36:39], v6 offset0:124 offset1:187
	v_fma_f64 v[40:41], v[74:75], v[40:41], v[42:43]
	s_waitcnt vmcnt(6)
	v_mul_f64 v[42:43], v[78:79], v[50:51]
	v_mul_f64 v[50:51], v[22:23], v[50:51]
	v_fma_f64 v[74:75], v[20:21], v[44:45], -v[86:87]
	v_fma_f64 v[44:45], v[76:77], v[44:45], v[46:47]
	s_waitcnt vmcnt(4) lgkmcnt(1)
	v_mul_f64 v[46:47], v[16:17], v[58:59]
	s_waitcnt lgkmcnt(0)
	v_mul_f64 v[76:77], v[38:39], v[54:55]
	v_mul_f64 v[58:59], v[28:29], v[58:59]
	v_fma_f64 v[42:43], v[22:23], v[48:49], -v[42:43]
	v_fma_f64 v[48:49], v[78:79], v[48:49], v[50:51]
	s_waitcnt vmcnt(3)
	v_mul_f64 v[50:51], v[18:19], v[2:3]
	v_mul_f64 v[2:3], v[30:31], v[2:3]
	v_fma_f64 v[28:29], v[28:29], v[56:57], -v[46:47]
	v_fma_f64 v[46:47], v[14:15], v[52:53], -v[76:77]
	ds_read2_b64 v[20:23], v5 offset0:120 offset1:183
	v_mul_f64 v[14:15], v[14:15], v[54:55]
	v_fma_f64 v[16:17], v[16:17], v[56:57], v[58:59]
	ds_read_b64 v[56:57], v94 offset:7056
	v_fma_f64 v[30:31], v[30:31], v[0:1], -v[50:51]
	s_waitcnt vmcnt(2) lgkmcnt(1)
	v_mul_f64 v[54:55], v[20:21], v[62:63]
	v_fma_f64 v[18:19], v[18:19], v[0:1], v[2:3]
	s_waitcnt vmcnt(1)
	v_mul_f64 v[0:1], v[22:23], v[66:67]
	v_add_f64 v[2:3], v[46:47], v[82:83]
	v_mul_f64 v[50:51], v[32:33], v[62:63]
	v_fma_f64 v[14:15], v[38:39], v[52:53], v[14:15]
	v_mul_f64 v[38:39], v[34:35], v[66:67]
	s_waitcnt vmcnt(0)
	v_mul_f64 v[52:53], v[80:81], v[70:71]
	v_fma_f64 v[32:33], v[32:33], v[60:61], -v[54:55]
	v_add_f64 v[66:67], v[74:75], -v[84:85]
	v_fma_f64 v[34:35], v[34:35], v[64:65], -v[0:1]
	v_fma_f64 v[54:55], v[2:3], -0.5, v[8:9]
	ds_read2_b64 v[0:3], v94 offset1:63
	v_fma_f64 v[20:21], v[20:21], v[60:61], v[50:51]
	v_add_f64 v[58:59], v[14:15], -v[72:73]
	v_fma_f64 v[22:23], v[22:23], v[64:65], v[38:39]
	v_add_f64 v[38:39], v[14:15], v[72:73]
	s_waitcnt lgkmcnt(0)
	v_add_f64 v[14:15], v[0:1], v[14:15]
	v_add_f64 v[60:61], v[74:75], v[84:85]
	v_mul_f64 v[50:51], v[56:57], v[70:71]
	v_fma_f64 v[52:53], v[56:57], v[68:69], v[52:53]
	v_add_f64 v[8:9], v[8:9], v[46:47]
	v_fma_f64 v[56:57], v[58:59], s[0:1], v[54:55]
	v_add_f64 v[46:47], v[46:47], -v[82:83]
	v_fma_f64 v[0:1], v[38:39], -0.5, v[0:1]
	v_fma_f64 v[38:39], v[58:59], s[4:5], v[54:55]
	v_add_f64 v[58:59], v[14:15], v[72:73]
	v_add_f64 v[14:15], v[10:11], v[74:75]
	v_fma_f64 v[10:11], v[60:61], -0.5, v[10:11]
	v_add_f64 v[60:61], v[44:45], -v[40:41]
	v_add_f64 v[54:55], v[44:45], v[40:41]
	v_add_f64 v[44:45], v[2:3], v[44:45]
	;; [unrolled: 1-line block ×3, first 2 shown]
	v_fma_f64 v[50:51], v[80:81], v[68:69], -v[50:51]
	v_fma_f64 v[62:63], v[46:47], s[4:5], v[0:1]
	v_fma_f64 v[46:47], v[46:47], s[0:1], v[0:1]
	v_add_f64 v[8:9], v[8:9], v[82:83]
	v_fma_f64 v[68:69], v[60:61], s[0:1], v[10:11]
	v_fma_f64 v[10:11], v[60:61], s[4:5], v[10:11]
	v_add_f64 v[60:61], v[48:49], v[16:17]
	v_fma_f64 v[54:55], v[54:55], -0.5, v[2:3]
	ds_read2_b64 v[0:3], v94 offset0:126 offset1:189
	v_add_f64 v[40:41], v[44:45], v[40:41]
	v_fma_f64 v[44:45], v[64:65], -0.5, v[24:25]
	v_add_f64 v[64:65], v[48:49], -v[16:17]
	v_add_f64 v[24:25], v[24:25], v[42:43]
	s_waitcnt lgkmcnt(0)
	v_add_f64 v[48:49], v[0:1], v[48:49]
	v_add_f64 v[42:43], v[42:43], -v[28:29]
	v_fma_f64 v[0:1], v[60:61], -0.5, v[0:1]
	v_add_f64 v[60:61], v[32:33], v[30:31]
	v_fma_f64 v[70:71], v[66:67], s[4:5], v[54:55]
	v_fma_f64 v[54:55], v[66:67], s[0:1], v[54:55]
	;; [unrolled: 1-line block ×4, first 2 shown]
	v_add_f64 v[48:49], v[48:49], v[16:17]
	v_add_f64 v[16:17], v[20:21], v[18:19]
	;; [unrolled: 1-line block ×3, first 2 shown]
	v_fma_f64 v[64:65], v[42:43], s[4:5], v[0:1]
	v_add_f64 v[28:29], v[26:27], v[32:33]
	v_fma_f64 v[26:27], v[60:61], -0.5, v[26:27]
	v_add_f64 v[60:61], v[20:21], -v[18:19]
	v_fma_f64 v[42:43], v[42:43], s[0:1], v[0:1]
	v_add_f64 v[0:1], v[34:35], v[50:51]
	v_fma_f64 v[16:17], v[16:17], -0.5, v[2:3]
	v_add_f64 v[2:3], v[2:3], v[20:21]
	v_add_f64 v[20:21], v[22:23], v[52:53]
	;; [unrolled: 1-line block ×3, first 2 shown]
	v_add_f64 v[30:31], v[32:33], -v[30:31]
	v_fma_f64 v[32:33], v[60:61], s[0:1], v[26:27]
	v_fma_f64 v[26:27], v[60:61], s[4:5], v[26:27]
	v_fma_f64 v[0:1], v[0:1], -0.5, v[12:13]
	v_add_f64 v[12:13], v[12:13], v[34:35]
	v_add_f64 v[60:61], v[22:23], -v[52:53]
	v_add_f64 v[14:15], v[14:15], v[84:85]
	v_fma_f64 v[20:21], v[20:21], -0.5, v[36:37]
	v_add_f64 v[22:23], v[36:37], v[22:23]
	v_add_f64 v[34:35], v[34:35], -v[50:51]
	v_add_f64 v[36:37], v[2:3], v[18:19]
	v_fma_f64 v[72:73], v[30:31], s[4:5], v[16:17]
	v_add_f64 v[2:3], v[12:13], v[50:51]
	v_fma_f64 v[12:13], v[60:61], s[0:1], v[0:1]
	v_fma_f64 v[74:75], v[30:31], s[0:1], v[16:17]
	;; [unrolled: 1-line block ×3, first 2 shown]
	v_mul_u32_u24_e32 v16, 0xd8, v88
	v_lshlrev_b32_sdwa v17, v7, v89 dst_sel:DWORD dst_unused:UNUSED_PAD src0_sel:DWORD src1_sel:BYTE_0
	v_add3_u32 v60, 0, v16, v17
	s_waitcnt lgkmcnt(0)
	; wave barrier
	ds_write2_b64 v60, v[8:9], v[56:57] offset1:9
	ds_write_b64 v60, v[38:39] offset:144
	v_mul_u32_u24_e32 v8, 0xd8, v90
	v_lshlrev_b32_sdwa v9, v7, v91 dst_sel:DWORD dst_unused:UNUSED_PAD src0_sel:DWORD src1_sel:BYTE_0
	v_add3_u32 v38, 0, v8, v9
	v_mul_u32_u24_e32 v8, 0xd8, v92
	v_lshlrev_b32_sdwa v9, v7, v93 dst_sel:DWORD dst_unused:UNUSED_PAD src0_sel:DWORD src1_sel:BYTE_0
	v_add3_u32 v39, 0, v8, v9
	v_mul_u32_u24_e32 v8, 0xd8, v99
	v_lshlrev_b32_sdwa v9, v7, v98 dst_sel:DWORD dst_unused:UNUSED_PAD src0_sel:DWORD src1_sel:BYTE_0
	ds_write2_b64 v38, v[14:15], v[68:69] offset1:9
	ds_write_b64 v38, v[10:11] offset:144
	ds_write2_b64 v39, v[24:25], v[66:67] offset1:9
	ds_write_b64 v39, v[44:45] offset:144
	v_add3_u32 v44, 0, v8, v9
	v_mul_u32_u24_e32 v8, 0xd8, v104
	v_lshlrev_b32_e32 v9, 3, v105
	v_add_f64 v[50:51], v[22:23], v[52:53]
	v_fma_f64 v[52:53], v[34:35], s[4:5], v[20:21]
	ds_write2_b64 v44, v[28:29], v[32:33] offset1:9
	ds_write_b64 v44, v[26:27] offset:144
	v_add3_u32 v32, 0, v8, v9
	v_fma_f64 v[34:35], v[34:35], s[0:1], v[20:21]
	ds_write2_b64 v32, v[2:3], v[12:13] offset1:9
	ds_write_b64 v32, v[0:1] offset:144
	s_waitcnt lgkmcnt(0)
	; wave barrier
	s_waitcnt lgkmcnt(0)
	ds_read2_b64 v[8:11], v94 offset1:63
	ds_read2_b64 v[0:3], v94 offset0:126 offset1:189
	ds_read2_b64 v[12:15], v97 offset0:122 offset1:185
	;; [unrolled: 1-line block ×6, first 2 shown]
	ds_read_b64 v[98:99], v94 offset:7056
	s_waitcnt lgkmcnt(0)
	; wave barrier
	s_waitcnt lgkmcnt(0)
	ds_write2_b64 v60, v[58:59], v[62:63] offset1:9
	ds_write_b64 v60, v[46:47] offset:144
	ds_write2_b64 v38, v[40:41], v[70:71] offset1:9
	ds_write_b64 v38, v[54:55] offset:144
	;; [unrolled: 2-line block ×5, first 2 shown]
	v_mov_b32_e32 v52, 19
	v_mul_lo_u16_sdwa v32, v108, v52 dst_sel:DWORD dst_unused:UNUSED_PAD src0_sel:BYTE_0 src1_sel:DWORD
	v_lshrrev_b16_e32 v118, 9, v32
	v_mul_lo_u16_e32 v32, 27, v118
	v_sub_u16_e32 v119, v108, v32
	v_mov_b32_e32 v53, 6
	v_lshlrev_b32_sdwa v54, v53, v119 dst_sel:DWORD dst_unused:UNUSED_PAD src0_sel:DWORD src1_sel:BYTE_0
	s_waitcnt lgkmcnt(0)
	; wave barrier
	s_waitcnt lgkmcnt(0)
	global_load_dwordx4 v[32:35], v54, s[8:9] offset:400
	v_mul_lo_u16_sdwa v36, v96, v52 dst_sel:DWORD dst_unused:UNUSED_PAD src0_sel:BYTE_0 src1_sel:DWORD
	v_lshrrev_b16_e32 v120, 9, v36
	v_mul_lo_u16_e32 v36, 27, v120
	v_sub_u16_e32 v121, v96, v36
	v_lshlrev_b32_sdwa v55, v53, v121 dst_sel:DWORD dst_unused:UNUSED_PAD src0_sel:DWORD src1_sel:BYTE_0
	global_load_dwordx4 v[36:39], v55, s[8:9] offset:400
	global_load_dwordx4 v[40:43], v54, s[8:9] offset:432
	;; [unrolled: 1-line block ×4, first 2 shown]
	v_mul_lo_u16_sdwa v52, v109, v52 dst_sel:DWORD dst_unused:UNUSED_PAD src0_sel:BYTE_0 src1_sel:DWORD
	v_lshrrev_b16_e32 v122, 9, v52
	v_mul_lo_u16_e32 v52, 27, v122
	v_sub_u16_e32 v123, v109, v52
	v_lshlrev_b32_sdwa v52, v53, v123 dst_sel:DWORD dst_unused:UNUSED_PAD src0_sel:DWORD src1_sel:BYTE_0
	global_load_dwordx4 v[58:61], v52, s[8:9] offset:384
	global_load_dwordx4 v[82:85], v54, s[8:9] offset:416
	;; [unrolled: 1-line block ×7, first 2 shown]
	ds_read2_b64 v[52:55], v97 offset0:122 offset1:185
	ds_read2_b64 v[68:71], v4 offset0:116 offset1:179
	s_mov_b32 s4, 0x4755a5e
	s_mov_b32 s5, 0x3fe2cf23
	s_mov_b32 s16, s4
	v_cmp_gt_u32_e64 s[0:1], 9, v108
	s_waitcnt vmcnt(11) lgkmcnt(1)
	v_mul_f64 v[56:57], v[52:53], v[34:35]
	v_mul_f64 v[34:35], v[12:13], v[34:35]
	s_waitcnt vmcnt(10)
	v_mul_f64 v[62:63], v[54:55], v[38:39]
	v_fma_f64 v[74:75], v[12:13], v[32:33], -v[56:57]
	v_mul_f64 v[12:13], v[14:15], v[38:39]
	v_fma_f64 v[66:67], v[52:53], v[32:33], v[34:35]
	ds_read2_b64 v[32:35], v6 offset0:124 offset1:187
	s_waitcnt vmcnt(9)
	v_mul_f64 v[38:39], v[16:17], v[42:43]
	v_fma_f64 v[62:63], v[14:15], v[36:37], -v[62:63]
	s_waitcnt lgkmcnt(1)
	v_mul_f64 v[14:15], v[68:69], v[42:43]
	s_waitcnt vmcnt(8)
	v_mul_f64 v[42:43], v[70:71], v[46:47]
	v_mul_f64 v[46:47], v[18:19], v[46:47]
	v_fma_f64 v[52:53], v[54:55], v[36:37], v[12:13]
	s_waitcnt vmcnt(7) lgkmcnt(0)
	v_mul_f64 v[12:13], v[32:33], v[50:51]
	v_mul_f64 v[50:51], v[20:21], v[50:51]
	v_fma_f64 v[64:65], v[68:69], v[40:41], v[38:39]
	ds_read2_b64 v[36:39], v5 offset0:120 offset1:183
	s_waitcnt vmcnt(6)
	v_mul_f64 v[54:55], v[34:35], v[60:61]
	v_fma_f64 v[78:79], v[16:17], v[40:41], -v[14:15]
	v_fma_f64 v[68:69], v[18:19], v[44:45], -v[42:43]
	v_fma_f64 v[18:19], v[70:71], v[44:45], v[46:47]
	v_mul_f64 v[16:17], v[22:23], v[60:61]
	v_fma_f64 v[56:57], v[32:33], v[48:49], v[50:51]
	s_waitcnt vmcnt(5) lgkmcnt(0)
	v_mul_f64 v[32:33], v[38:39], v[84:85]
	s_waitcnt vmcnt(4)
	v_mul_f64 v[46:47], v[36:37], v[88:89]
	v_fma_f64 v[70:71], v[20:21], v[48:49], -v[12:13]
	ds_read2_b64 v[12:15], v94 offset0:126 offset1:189
	ds_read2_b64 v[40:43], v95 offset0:118 offset1:181
	v_fma_f64 v[20:21], v[22:23], v[58:59], -v[54:55]
	v_mul_f64 v[48:49], v[24:25], v[88:89]
	v_fma_f64 v[22:23], v[34:35], v[58:59], v[16:17]
	v_fma_f64 v[80:81], v[26:27], v[82:83], -v[32:33]
	s_waitcnt vmcnt(2) lgkmcnt(1)
	v_mul_f64 v[16:17], v[14:15], v[106:107]
	v_fma_f64 v[58:59], v[24:25], v[86:87], -v[46:47]
	v_mul_f64 v[24:25], v[2:3], v[106:107]
	s_waitcnt lgkmcnt(0)
	v_mul_f64 v[50:51], v[40:41], v[92:93]
	v_mul_f64 v[44:45], v[26:27], v[84:85]
	;; [unrolled: 1-line block ×3, first 2 shown]
	v_fma_f64 v[54:55], v[36:37], v[86:87], v[48:49]
	v_add_f64 v[32:33], v[74:75], v[80:81]
	v_fma_f64 v[84:85], v[2:3], v[104:105], -v[16:17]
	s_waitcnt vmcnt(1)
	v_mul_f64 v[2:3], v[42:43], v[112:113]
	v_mul_f64 v[16:17], v[30:31], v[112:113]
	v_fma_f64 v[92:93], v[14:15], v[104:105], v[24:25]
	v_fma_f64 v[72:73], v[28:29], v[90:91], -v[50:51]
	ds_read_b64 v[28:29], v94 offset:7056
	v_fma_f64 v[76:77], v[38:39], v[82:83], v[44:45]
	v_fma_f64 v[60:61], v[40:41], v[90:91], v[26:27]
	s_waitcnt vmcnt(0)
	v_mul_f64 v[14:15], v[98:99], v[116:117]
	v_fma_f64 v[88:89], v[30:31], v[110:111], -v[2:3]
	s_waitcnt lgkmcnt(0)
	v_mul_f64 v[26:27], v[28:29], v[116:117]
	v_fma_f64 v[86:87], v[42:43], v[110:111], v[16:17]
	v_fma_f64 v[2:3], v[32:33], -0.5, v[8:9]
	v_add_f64 v[30:31], v[92:93], -v[64:65]
	v_add_f64 v[16:17], v[84:85], v[78:79]
	v_add_f64 v[24:25], v[84:85], -v[74:75]
	v_add_f64 v[34:35], v[78:79], -v[80:81]
	v_add_f64 v[36:37], v[8:9], v[84:85]
	v_fma_f64 v[90:91], v[98:99], v[114:115], -v[26:27]
	v_fma_f64 v[82:83], v[28:29], v[114:115], v[14:15]
	v_add_f64 v[28:29], v[66:67], -v[76:77]
	v_fma_f64 v[26:27], v[30:31], s[10:11], v[2:3]
	v_fma_f64 v[8:9], v[16:17], -0.5, v[8:9]
	v_mul_u32_u24_e32 v6, 0x438, v118
	v_lshlrev_b32_sdwa v32, v7, v119 dst_sel:DWORD dst_unused:UNUSED_PAD src0_sel:DWORD src1_sel:BYTE_0
	v_add_f64 v[24:25], v[24:25], v[34:35]
	v_add_f64 v[14:15], v[36:37], v[74:75]
	v_add3_u32 v98, 0, v6, v32
	v_add_f64 v[32:33], v[80:81], -v[78:79]
	v_fma_f64 v[16:17], v[28:29], s[4:5], v[26:27]
	v_add_f64 v[26:27], v[74:75], -v[84:85]
	v_fma_f64 v[34:35], v[28:29], s[12:13], v[8:9]
	v_fma_f64 v[8:9], v[28:29], s[10:11], v[8:9]
	;; [unrolled: 1-line block ×3, first 2 shown]
	v_add_f64 v[14:15], v[14:15], v[80:81]
	v_add_f64 v[40:41], v[70:71], -v[62:63]
	v_add_f64 v[42:43], v[68:69], -v[72:73]
	v_fma_f64 v[38:39], v[24:25], s[6:7], v[16:17]
	v_add_f64 v[26:27], v[26:27], v[32:33]
	v_fma_f64 v[32:33], v[30:31], s[4:5], v[34:35]
	v_add_f64 v[34:35], v[62:63], v[72:73]
	;; [unrolled: 2-line block ×3, first 2 shown]
	v_fma_f64 v[2:3], v[28:29], s[16:17], v[2:3]
	ds_read2_b64 v[14:17], v94 offset1:63
	s_waitcnt lgkmcnt(0)
	; wave barrier
	s_waitcnt lgkmcnt(0)
	v_fma_f64 v[30:31], v[26:27], s[6:7], v[32:33]
	v_fma_f64 v[28:29], v[34:35], -0.5, v[10:11]
	v_add_f64 v[32:33], v[10:11], v[70:71]
	v_add_f64 v[34:35], v[56:57], -v[18:19]
	v_fma_f64 v[8:9], v[26:27], s[6:7], v[8:9]
	v_add_f64 v[26:27], v[70:71], v[68:69]
	v_fma_f64 v[2:3], v[24:25], s[6:7], v[2:3]
	ds_write2_b64 v98, v[36:37], v[38:39] offset1:27
	v_add_f64 v[36:37], v[52:53], -v[60:61]
	v_mul_u32_u24_e32 v6, 0x438, v120
	v_add_f64 v[24:25], v[32:33], v[62:63]
	v_fma_f64 v[32:33], v[34:35], s[10:11], v[28:29]
	ds_write2_b64 v98, v[30:31], v[8:9] offset0:54 offset1:81
	v_fma_f64 v[8:9], v[26:27], -0.5, v[10:11]
	v_lshlrev_b32_sdwa v38, v7, v121 dst_sel:DWORD dst_unused:UNUSED_PAD src0_sel:DWORD src1_sel:BYTE_0
	v_add_f64 v[10:11], v[40:41], v[42:43]
	ds_write_b64 v98, v[2:3] offset:864
	v_add_f64 v[26:27], v[62:63], -v[70:71]
	v_add_f64 v[2:3], v[24:25], v[72:73]
	v_fma_f64 v[24:25], v[36:37], s[4:5], v[32:33]
	v_add_f64 v[30:31], v[72:73], -v[68:69]
	v_add3_u32 v99, 0, v6, v38
	v_fma_f64 v[32:33], v[36:37], s[12:13], v[8:9]
	v_add_f64 v[38:39], v[20:21], v[90:91]
	v_fma_f64 v[8:9], v[36:37], s[10:11], v[8:9]
	v_add_f64 v[40:41], v[58:59], v[88:89]
	v_fma_f64 v[28:29], v[34:35], s[12:13], v[28:29]
	v_add_f64 v[42:43], v[88:89], -v[90:91]
	v_add_f64 v[26:27], v[26:27], v[30:31]
	v_add_f64 v[46:47], v[20:21], -v[58:59]
	v_fma_f64 v[30:31], v[34:35], s[4:5], v[32:33]
	v_fma_f64 v[32:33], v[38:39], -0.5, v[0:1]
	v_add_f64 v[38:39], v[54:55], -v[86:87]
	v_fma_f64 v[8:9], v[34:35], s[16:17], v[8:9]
	v_fma_f64 v[34:35], v[40:41], -0.5, v[0:1]
	v_add_f64 v[0:1], v[0:1], v[20:21]
	v_add_f64 v[40:41], v[22:23], -v[82:83]
	v_fma_f64 v[28:29], v[36:37], s[16:17], v[28:29]
	v_add_f64 v[36:37], v[58:59], -v[20:21]
	v_add_f64 v[48:49], v[90:91], -v[88:89]
	v_fma_f64 v[44:45], v[38:39], s[12:13], v[32:33]
	v_fma_f64 v[32:33], v[38:39], s[10:11], v[32:33]
	v_add_f64 v[2:3], v[2:3], v[68:69]
	v_add_f64 v[0:1], v[0:1], v[58:59]
	v_fma_f64 v[50:51], v[40:41], s[10:11], v[34:35]
	v_fma_f64 v[34:35], v[40:41], s[12:13], v[34:35]
	;; [unrolled: 1-line block ×3, first 2 shown]
	v_add_f64 v[36:37], v[36:37], v[42:43]
	v_fma_f64 v[42:43], v[40:41], s[4:5], v[44:45]
	v_add_f64 v[44:45], v[46:47], v[48:49]
	v_fma_f64 v[32:33], v[40:41], s[16:17], v[32:33]
	;; [unrolled: 2-line block ×3, first 2 shown]
	v_fma_f64 v[34:35], v[38:39], s[16:17], v[34:35]
	v_fma_f64 v[30:31], v[26:27], s[6:7], v[30:31]
	;; [unrolled: 1-line block ×3, first 2 shown]
	ds_write2_b64 v99, v[2:3], v[24:25] offset1:27
	v_fma_f64 v[10:11], v[10:11], s[6:7], v[28:29]
	v_fma_f64 v[2:3], v[36:37], s[6:7], v[42:43]
	v_add_f64 v[24:25], v[0:1], v[90:91]
	v_fma_f64 v[26:27], v[44:45], s[6:7], v[46:47]
	v_fma_f64 v[28:29], v[36:37], s[6:7], v[32:33]
	;; [unrolled: 1-line block ×3, first 2 shown]
	v_lshlrev_b32_sdwa v6, v7, v123 dst_sel:DWORD dst_unused:UNUSED_PAD src0_sel:DWORD src1_sel:BYTE_0
	v_mul_u32_u24_e32 v7, 0x438, v122
	v_add3_u32 v106, 0, v7, v6
	ds_write2_b64 v99, v[30:31], v[8:9] offset0:54 offset1:81
	ds_write_b64 v99, v[10:11] offset:864
	ds_write2_b64 v106, v[24:25], v[26:27] offset1:27
	ds_write2_b64 v106, v[2:3], v[28:29] offset0:54 offset1:81
	ds_write_b64 v106, v[0:1] offset:864
	s_waitcnt lgkmcnt(0)
	; wave barrier
	s_waitcnt lgkmcnt(0)
	ds_read2_b64 v[24:27], v94 offset1:63
	ds_read2_b64 v[28:31], v94 offset0:135 offset1:198
	v_add_u32_e32 v107, 0x1800, v94
	ds_read2_b64 v[40:43], v97 offset0:14 offset1:77
	ds_read2_b64 v[44:47], v97 offset0:149 offset1:212
	;; [unrolled: 1-line block ×5, first 2 shown]
                                        ; implicit-def: $vgpr104_vgpr105
                                        ; implicit-def: $vgpr6_vgpr7
                                        ; implicit-def: $vgpr10_vgpr11
	s_and_saveexec_b64 s[18:19], s[0:1]
	s_cbranch_execz .LBB0_15
; %bb.14:
	v_add_u32_e32 v0, 0x200, v94
	ds_read2_b64 v[0:3], v0 offset0:62 offset1:197
	ds_read2_b64 v[8:11], v5 offset0:12 offset1:147
	;; [unrolled: 1-line block ×3, first 2 shown]
	ds_read_b64 v[104:105], v94 offset:7488
.LBB0_15:
	s_or_b64 exec, exec, s[18:19]
	v_add_f64 v[110:111], v[14:15], v[92:93]
	v_add_f64 v[112:113], v[66:67], v[76:77]
	v_add_f64 v[78:79], v[84:85], -v[78:79]
	v_add_f64 v[84:85], v[92:93], v[64:65]
	v_add_f64 v[74:75], v[74:75], -v[80:81]
	v_add_f64 v[80:81], v[92:93], -v[66:67]
	v_add_f64 v[114:115], v[64:65], -v[76:77]
	v_add_f64 v[118:119], v[76:77], -v[64:65]
	v_add_f64 v[110:111], v[110:111], v[66:67]
	v_fma_f64 v[112:113], v[112:113], -0.5, v[14:15]
	v_add_f64 v[66:67], v[66:67], -v[92:93]
	v_add_f64 v[92:93], v[16:17], v[56:57]
	v_fma_f64 v[14:15], v[84:85], -0.5, v[14:15]
	v_add_f64 v[68:69], v[70:71], -v[68:69]
	v_add_f64 v[116:117], v[52:53], v[60:61]
	v_add_f64 v[80:81], v[80:81], v[114:115]
	;; [unrolled: 1-line block ×3, first 2 shown]
	v_fma_f64 v[76:77], v[78:79], s[12:13], v[112:113]
	v_fma_f64 v[110:111], v[78:79], s[10:11], v[112:113]
	v_add_f64 v[92:93], v[92:93], v[52:53]
	v_fma_f64 v[112:113], v[74:75], s[10:11], v[14:15]
	v_fma_f64 v[14:15], v[74:75], s[12:13], v[14:15]
	v_add_f64 v[66:67], v[66:67], v[118:119]
	v_fma_f64 v[84:85], v[116:117], -0.5, v[16:17]
	v_add_f64 v[64:65], v[70:71], v[64:65]
	v_fma_f64 v[70:71], v[74:75], s[16:17], v[76:77]
	v_fma_f64 v[74:75], v[74:75], s[4:5], v[110:111]
	v_add_f64 v[110:111], v[56:57], v[18:19]
	v_fma_f64 v[112:113], v[78:79], s[16:17], v[112:113]
	v_fma_f64 v[14:15], v[78:79], s[4:5], v[14:15]
	v_add_f64 v[78:79], v[92:93], v[60:61]
	v_add_f64 v[62:63], v[62:63], -v[72:73]
	v_add_f64 v[72:73], v[56:57], -v[52:53]
	v_fma_f64 v[70:71], v[80:81], s[6:7], v[70:71]
	v_fma_f64 v[74:75], v[80:81], s[6:7], v[74:75]
	v_add_f64 v[52:53], v[52:53], -v[56:57]
	v_fma_f64 v[80:81], v[66:67], s[6:7], v[112:113]
	v_fma_f64 v[14:15], v[66:67], s[6:7], v[14:15]
	v_add_f64 v[66:67], v[78:79], v[18:19]
	v_add_f64 v[78:79], v[54:55], v[86:87]
	;; [unrolled: 1-line block ×3, first 2 shown]
	v_fma_f64 v[16:17], v[110:111], -0.5, v[16:17]
	v_fma_f64 v[76:77], v[68:69], s[12:13], v[84:85]
	v_add_f64 v[114:115], v[18:19], -v[60:61]
	v_fma_f64 v[84:85], v[68:69], s[10:11], v[84:85]
	v_add_f64 v[18:19], v[60:61], -v[18:19]
	v_add_f64 v[60:61], v[12:13], v[22:23]
	v_fma_f64 v[78:79], v[78:79], -0.5, v[12:13]
	v_add_f64 v[20:21], v[20:21], -v[90:91]
	v_add_f64 v[58:59], v[58:59], -v[88:89]
	v_fma_f64 v[12:13], v[56:57], -0.5, v[12:13]
	v_fma_f64 v[92:93], v[62:63], s[10:11], v[16:17]
	v_fma_f64 v[16:17], v[62:63], s[12:13], v[16:17]
	;; [unrolled: 1-line block ×4, first 2 shown]
	v_add_f64 v[18:19], v[52:53], v[18:19]
	v_add_f64 v[52:53], v[60:61], v[54:55]
	v_fma_f64 v[56:57], v[20:21], s[12:13], v[78:79]
	v_add_f64 v[60:61], v[22:23], -v[54:55]
	v_add_f64 v[62:63], v[82:83], -v[86:87]
	v_fma_f64 v[88:89], v[58:59], s[10:11], v[12:13]
	v_add_f64 v[22:23], v[54:55], -v[22:23]
	v_add_f64 v[54:55], v[86:87], -v[82:83]
	v_fma_f64 v[12:13], v[58:59], s[12:13], v[12:13]
	v_fma_f64 v[78:79], v[20:21], s[10:11], v[78:79]
	v_add_f64 v[72:73], v[72:73], v[114:115]
	v_fma_f64 v[90:91], v[68:69], s[16:17], v[92:93]
	v_fma_f64 v[16:17], v[68:69], s[4:5], v[16:17]
	v_add_f64 v[52:53], v[52:53], v[86:87]
	v_fma_f64 v[56:57], v[58:59], s[16:17], v[56:57]
	v_add_f64 v[60:61], v[60:61], v[62:63]
	;; [unrolled: 2-line block ×3, first 2 shown]
	v_fma_f64 v[20:21], v[20:21], s[4:5], v[12:13]
	v_fma_f64 v[58:59], v[58:59], s[4:5], v[78:79]
	;; [unrolled: 1-line block ×6, first 2 shown]
	v_add_f64 v[18:19], v[52:53], v[82:83]
	v_fma_f64 v[52:53], v[60:61], s[6:7], v[56:57]
	v_fma_f64 v[56:57], v[22:23], s[6:7], v[62:63]
	;; [unrolled: 1-line block ×4, first 2 shown]
	s_waitcnt lgkmcnt(0)
	; wave barrier
	s_waitcnt lgkmcnt(0)
	ds_write2_b64 v98, v[64:65], v[70:71] offset1:27
	ds_write2_b64 v98, v[80:81], v[14:15] offset0:54 offset1:81
	ds_write_b64 v98, v[74:75] offset:864
	ds_write2_b64 v99, v[66:67], v[76:77] offset1:27
	ds_write2_b64 v99, v[68:69], v[16:17] offset0:54 offset1:81
	ds_write_b64 v99, v[54:55] offset:864
	;; [unrolled: 3-line block ×3, first 2 shown]
	s_waitcnt lgkmcnt(0)
	; wave barrier
	s_waitcnt lgkmcnt(0)
	ds_read2_b64 v[52:55], v94 offset1:63
	ds_read2_b64 v[56:59], v94 offset0:135 offset1:198
	ds_read2_b64 v[72:75], v97 offset0:14 offset1:77
	;; [unrolled: 1-line block ×6, first 2 shown]
                                        ; implicit-def: $vgpr106_vgpr107
                                        ; implicit-def: $vgpr18_vgpr19
                                        ; implicit-def: $vgpr22_vgpr23
	s_and_saveexec_b64 s[4:5], s[0:1]
	s_cbranch_execz .LBB0_17
; %bb.16:
	v_add_u32_e32 v16, 0xc00, v94
	v_add_u32_e32 v12, 0x200, v94
	ds_read2_b64 v[20:23], v16 offset0:12 offset1:147
	v_add_u32_e32 v16, 0x1400, v94
	ds_read2_b64 v[12:15], v12 offset0:62 offset1:197
	ds_read2_b64 v[16:19], v16 offset0:26 offset1:161
	ds_read_b64 v[106:107], v94 offset:7488
.LBB0_17:
	s_or_b64 exec, exec, s[4:5]
	s_and_saveexec_b64 s[4:5], vcc
	s_cbranch_execz .LBB0_20
; %bb.18:
	v_mul_u32_u24_e32 v80, 6, v96
	v_lshlrev_b32_e32 v110, 4, v80
	global_load_dwordx4 v[84:87], v110, s[8:9] offset:2144
	global_load_dwordx4 v[80:83], v110, s[8:9] offset:2160
	;; [unrolled: 1-line block ×5, first 2 shown]
	v_mul_u32_u24_e32 v114, 6, v108
	global_load_dwordx4 v[110:113], v110, s[8:9] offset:2192
	v_lshlrev_b32_e32 v134, 4, v114
	global_load_dwordx4 v[114:117], v134, s[8:9] offset:2160
	global_load_dwordx4 v[118:121], v134, s[8:9] offset:2144
	;; [unrolled: 1-line block ×5, first 2 shown]
	s_nop 0
	global_load_dwordx4 v[134:137], v134, s[8:9] offset:2192
	v_mul_lo_u32 v138, s3, v102
	v_mul_lo_u32 v139, s2, v103
	v_mad_u64_u32 v[102:103], s[2:3], s2, v102, 0
	s_mov_b32 s18, 0xe976ee23
	s_mov_b32 s12, 0x429ad128
	v_add3_u32 v103, v103, v139, v138
	s_mov_b32 s19, 0xbfe11646
	s_mov_b32 s13, 0x3febfeb5
	;; [unrolled: 1-line block ×19, first 2 shown]
	s_movk_i32 s27, 0x87
	s_waitcnt vmcnt(11) lgkmcnt(3)
	v_mul_f64 v[138:139], v[78:79], v[86:87]
	s_waitcnt vmcnt(10) lgkmcnt(2)
	v_mul_f64 v[140:141], v[62:63], v[82:83]
	s_waitcnt vmcnt(9)
	v_mul_f64 v[142:143], v[74:75], v[90:91]
	v_mul_f64 v[90:91], v[42:43], v[90:91]
	s_waitcnt vmcnt(8) lgkmcnt(1)
	v_mul_f64 v[144:145], v[70:71], v[98:99]
	v_mul_f64 v[98:99], v[38:39], v[98:99]
	s_waitcnt vmcnt(7)
	v_mul_f64 v[146:147], v[58:59], v[94:95]
	v_mul_f64 v[94:95], v[30:31], v[94:95]
	s_waitcnt vmcnt(6) lgkmcnt(0)
	v_mul_f64 v[148:149], v[66:67], v[112:113]
	v_mul_f64 v[112:113], v[34:35], v[112:113]
	;; [unrolled: 1-line block ×4, first 2 shown]
	s_waitcnt vmcnt(5)
	v_mul_f64 v[150:151], v[60:61], v[116:117]
	s_waitcnt vmcnt(4)
	v_mul_f64 v[152:153], v[76:77], v[120:121]
	;; [unrolled: 2-line block ×3, first 2 shown]
	v_fma_f64 v[46:47], v[46:47], v[84:85], -v[138:139]
	v_fma_f64 v[50:51], v[50:51], v[80:81], -v[140:141]
	v_fma_f64 v[42:43], v[42:43], v[88:89], -v[142:143]
	v_fma_f64 v[74:75], v[74:75], v[88:89], v[90:91]
	v_fma_f64 v[38:39], v[38:39], v[96:97], -v[144:145]
	v_fma_f64 v[70:71], v[70:71], v[96:97], v[98:99]
	v_fma_f64 v[30:31], v[30:31], v[92:93], -v[146:147]
	;; [unrolled: 2-line block ×3, first 2 shown]
	v_fma_f64 v[66:67], v[66:67], v[110:111], v[112:113]
	v_mul_f64 v[120:121], v[44:45], v[120:121]
	v_mul_f64 v[116:117], v[48:49], v[116:117]
	;; [unrolled: 1-line block ×3, first 2 shown]
	v_fma_f64 v[78:79], v[78:79], v[84:85], v[86:87]
	v_fma_f64 v[62:63], v[62:63], v[80:81], v[82:83]
	v_fma_f64 v[80:81], v[48:49], v[114:115], -v[150:151]
	v_fma_f64 v[82:83], v[44:45], v[118:119], -v[152:153]
	v_fma_f64 v[84:85], v[40:41], v[122:123], -v[154:155]
	v_add_f64 v[40:41], v[50:51], -v[46:47]
	v_add_f64 v[44:45], v[42:43], -v[38:39]
	;; [unrolled: 1-line block ×3, first 2 shown]
	v_add_f64 v[90:91], v[74:75], v[70:71]
	v_add_f64 v[92:93], v[58:59], v[66:67]
	;; [unrolled: 1-line block ×6, first 2 shown]
	v_add_f64 v[34:35], v[62:63], -v[78:79]
	v_add_f64 v[42:43], v[74:75], -v[70:71]
	;; [unrolled: 1-line block ×3, first 2 shown]
	v_add_f64 v[58:59], v[40:41], v[44:45]
	v_add_f64 v[62:63], v[40:41], -v[44:45]
	v_add_f64 v[74:75], v[90:91], v[92:93]
	v_add_f64 v[44:45], v[44:45], -v[48:49]
	v_add_f64 v[40:41], v[48:49], -v[40:41]
	;; [unrolled: 1-line block ×6, first 2 shown]
	v_add_f64 v[96:97], v[38:39], v[30:31]
	v_add_f64 v[90:91], v[90:91], -v[92:93]
	v_add_f64 v[92:93], v[34:35], v[42:43]
	v_add_f64 v[30:31], v[38:39], -v[30:31]
	v_add_f64 v[38:39], v[34:35], -v[42:43]
	;; [unrolled: 1-line block ×3, first 2 shown]
	v_add_f64 v[48:49], v[58:59], v[48:49]
	v_mul_f64 v[58:59], v[62:63], s[18:19]
	v_add_f64 v[74:75], v[88:89], v[74:75]
	v_mul_f64 v[88:89], v[44:45], s[12:13]
	s_waitcnt vmcnt(2)
	v_mul_f64 v[156:157], v[68:69], v[128:129]
	v_add_f64 v[34:35], v[50:51], -v[34:35]
	v_mul_f64 v[62:63], v[66:67], s[16:17]
	v_mul_f64 v[70:71], v[70:71], s[20:21]
	v_add_f64 v[46:47], v[46:47], v[96:97]
	v_add_f64 v[50:51], v[92:93], v[50:51]
	v_mul_f64 v[92:93], v[38:39], s[18:19]
	v_mul_f64 v[98:99], v[42:43], s[12:13]
	v_fma_f64 v[88:89], v[40:41], s[10:11], -v[88:89]
	v_fma_f64 v[110:111], v[40:41], s[6:7], v[58:59]
	v_add_f64 v[40:41], v[54:55], v[74:75]
	s_waitcnt vmcnt(1)
	v_mul_f64 v[158:159], v[56:57], v[132:133]
	s_waitcnt vmcnt(0)
	v_mul_f64 v[160:161], v[64:65], v[136:137]
	v_fma_f64 v[86:87], v[36:37], v[126:127], -v[156:157]
	v_mul_f64 v[96:97], v[78:79], s[16:17]
	v_mul_f64 v[94:95], v[94:95], s[20:21]
	v_fma_f64 v[66:67], v[66:67], s[16:17], v[70:71]
	v_add_f64 v[38:39], v[26:27], v[46:47]
	v_fma_f64 v[26:27], v[90:91], s[22:23], -v[70:71]
	v_fma_f64 v[54:55], v[90:91], s[24:25], -v[62:63]
	;; [unrolled: 1-line block ×4, first 2 shown]
	v_fma_f64 v[34:35], v[34:35], s[6:7], v[92:93]
	v_fma_f64 v[70:71], v[74:75], s[4:5], v[40:41]
	;; [unrolled: 1-line block ×3, first 2 shown]
	v_fma_f64 v[42:43], v[42:43], s[12:13], -v[92:93]
	v_fma_f64 v[74:75], v[30:31], s[22:23], -v[94:95]
	;; [unrolled: 1-line block ×5, first 2 shown]
	v_fma_f64 v[90:91], v[50:51], s[2:3], v[34:35]
	v_add_f64 v[66:67], v[66:67], v[70:71]
	v_add_f64 v[26:27], v[26:27], v[70:71]
	;; [unrolled: 1-line block ×3, first 2 shown]
	v_mul_f64 v[34:35], v[36:37], v[128:129]
	v_add_f64 v[70:71], v[80:81], -v[82:83]
	v_mul_f64 v[28:29], v[28:29], v[132:133]
	v_add_f64 v[96:97], v[84:85], -v[86:87]
	v_mul_f64 v[98:99], v[32:33], v[136:137]
	v_fma_f64 v[46:47], v[46:47], s[4:5], v[38:39]
	v_fma_f64 v[78:79], v[48:49], s[2:3], v[110:111]
	;; [unrolled: 1-line block ×5, first 2 shown]
	v_add_f64 v[110:111], v[92:93], -v[94:95]
	v_add_f64 v[112:113], v[70:71], -v[96:97]
	v_fma_f64 v[68:69], v[68:69], v[126:127], v[34:35]
	v_fma_f64 v[28:29], v[56:57], v[130:131], v[28:29]
	;; [unrolled: 1-line block ×4, first 2 shown]
	v_add_f64 v[62:63], v[62:63], v[46:47]
	v_fma_f64 v[58:59], v[50:51], s[2:3], v[58:59]
	v_fma_f64 v[50:51], v[50:51], s[2:3], v[42:43]
	v_add_f64 v[74:75], v[74:75], v[46:47]
	v_add_f64 v[46:47], v[30:31], v[46:47]
	v_add_f64 v[36:37], v[54:55], -v[48:49]
	v_fma_f64 v[60:61], v[60:61], v[114:115], v[116:117]
	v_add_f64 v[48:49], v[48:49], v[54:55]
	v_add_f64 v[54:55], v[70:71], v[96:97]
	v_mul_f64 v[98:99], v[112:113], s[18:19]
	v_add_f64 v[70:71], v[110:111], -v[70:71]
	v_add_f64 v[112:113], v[72:73], v[68:69]
	v_add_f64 v[114:115], v[28:29], v[64:65]
	;; [unrolled: 1-line block ×7, first 2 shown]
	v_add_f64 v[46:47], v[46:47], -v[50:51]
	v_add_f64 v[56:57], v[26:27], -v[88:89]
	v_add_f64 v[26:27], v[54:55], v[110:111]
	v_fma_f64 v[50:51], v[70:71], s[6:7], v[98:99]
	v_add_f64 v[88:89], v[112:113], v[114:115]
	v_add_f64 v[80:81], v[80:81], v[82:83]
	;; [unrolled: 1-line block ×3, first 2 shown]
	v_add_f64 v[30:31], v[74:75], -v[58:59]
	v_add_f64 v[60:61], v[60:61], -v[76:77]
	;; [unrolled: 1-line block ×3, first 2 shown]
	v_add_f64 v[54:55], v[58:59], v[74:75]
	v_add_f64 v[28:29], v[28:29], -v[64:65]
	v_add_f64 v[72:73], v[116:117], v[88:89]
	v_fma_f64 v[88:89], v[26:27], s[2:3], v[50:51]
	v_add_f64 v[50:51], v[86:87], -v[80:81]
	v_add_f64 v[74:75], v[80:81], v[82:83]
	v_add_f64 v[64:65], v[80:81], -v[84:85]
	v_add_f64 v[82:83], v[60:61], -v[68:69]
	;; [unrolled: 1-line block ×6, first 2 shown]
	v_mul_f64 v[80:81], v[50:51], s[20:21]
	v_add_f64 v[50:51], v[24:25], v[74:75]
	v_add_f64 v[24:25], v[60:61], v[68:69]
	v_add_f64 v[68:69], v[68:69], -v[28:29]
	v_mul_f64 v[82:83], v[82:83], s[18:19]
	v_add_f64 v[60:61], v[28:29], -v[60:61]
	v_mul_f64 v[76:77], v[92:93], s[16:17]
	v_add_f64 v[52:53], v[52:53], v[72:73]
	v_fma_f64 v[96:97], v[64:65], s[16:17], v[80:81]
	v_mul_f64 v[64:65], v[64:65], s[16:17]
	v_mul_f64 v[110:111], v[94:95], s[12:13]
	;; [unrolled: 1-line block ×3, first 2 shown]
	v_add_f64 v[112:113], v[112:113], -v[114:115]
	v_mul_f64 v[58:59], v[58:59], s[20:21]
	v_fma_f64 v[74:75], v[74:75], s[4:5], v[50:51]
	v_add_f64 v[24:25], v[24:25], v[28:29]
	v_fma_f64 v[28:29], v[60:61], s[6:7], v[82:83]
	v_fma_f64 v[80:81], v[84:85], s[22:23], -v[80:81]
	v_fma_f64 v[68:69], v[68:69], s[12:13], -v[82:83]
	;; [unrolled: 1-line block ×4, first 2 shown]
	v_fma_f64 v[72:73], v[72:73], s[4:5], v[52:53]
	v_fma_f64 v[70:71], v[70:71], s[10:11], -v[110:111]
	v_fma_f64 v[76:77], v[112:113], s[24:25], -v[76:77]
	;; [unrolled: 1-line block ×3, first 2 shown]
	v_fma_f64 v[92:93], v[92:93], s[16:17], v[58:59]
	v_fma_f64 v[58:59], v[112:113], s[22:23], -v[58:59]
	v_add_f64 v[96:97], v[96:97], v[74:75]
	v_fma_f64 v[28:29], v[24:25], s[2:3], v[28:29]
	v_add_f64 v[94:95], v[80:81], v[74:75]
	v_fma_f64 v[98:99], v[24:25], s[2:3], v[60:61]
	v_fma_f64 v[24:25], v[24:25], s[2:3], v[68:69]
	v_add_f64 v[74:75], v[64:65], v[74:75]
	v_add_f64 v[44:45], v[78:79], v[66:67]
	v_add_f64 v[60:61], v[66:67], -v[78:79]
	v_mul_hi_u32 v78, v108, s26
	v_fma_f64 v[82:83], v[26:27], s[2:3], v[70:71]
	v_add_f64 v[76:77], v[76:77], v[72:73]
	v_fma_f64 v[26:27], v[26:27], s[2:3], v[86:87]
	v_add_f64 v[92:93], v[92:93], v[72:73]
	v_add_f64 v[84:85], v[58:59], v[72:73]
	;; [unrolled: 1-line block ×3, first 2 shown]
	v_add_f64 v[74:75], v[74:75], -v[24:25]
	v_lshrrev_b32_e32 v24, 7, v78
	v_mul_lo_u32 v24, v24, s27
	v_add_f64 v[42:43], v[62:63], -v[90:91]
	v_add_f64 v[72:73], v[76:77], -v[26:27]
	v_add_f64 v[76:77], v[26:27], v[76:77]
	v_sub_u32_e32 v26, v108, v24
	v_lshlrev_b64 v[24:25], 4, v[102:103]
	v_add_f64 v[58:59], v[90:91], v[62:63]
	v_add_f64 v[62:63], v[96:97], -v[28:29]
	v_add_f64 v[68:69], v[82:83], v[84:85]
	v_add_f64 v[80:81], v[84:85], -v[82:83]
	v_add_f64 v[84:85], v[92:93], -v[88:89]
	v_add_f64 v[82:83], v[28:29], v[96:97]
	v_mov_b32_e32 v27, s15
	v_add_co_u32_e32 v28, vcc, s14, v24
	v_addc_co_u32_e32 v27, vcc, v27, v25, vcc
	v_lshlrev_b64 v[24:25], 4, v[100:101]
	v_add_f64 v[78:79], v[98:99], v[94:95]
	v_add_co_u32_e32 v28, vcc, v28, v24
	v_addc_co_u32_e32 v29, vcc, v27, v25, vcc
	v_lshlrev_b32_e32 v24, 4, v26
	v_add_co_u32_e32 v26, vcc, v28, v24
	v_addc_co_u32_e32 v27, vcc, 0, v29, vcc
	v_add_u32_e32 v24, 63, v108
	global_store_dwordx4 v[26:27], v[50:53], off
	global_store_dwordx4 v[26:27], v[82:85], off offset:2160
	v_mul_hi_u32 v52, v24, s26
	v_add_f64 v[66:67], v[94:95], -v[98:99]
	s_movk_i32 s14, 0x1000
	v_add_f64 v[64:65], v[88:89], v[92:93]
	v_lshrrev_b32_e32 v52, 7, v52
	v_mul_lo_u32 v53, v52, s27
	v_add_co_u32_e32 v50, vcc, s14, v26
	v_addc_co_u32_e32 v51, vcc, 0, v27, vcc
	s_movk_i32 s14, 0x2000
	global_store_dwordx4 v[50:51], v[78:81], off offset:224
	global_store_dwordx4 v[50:51], v[74:77], off offset:2384
	v_add_co_u32_e32 v50, vcc, s14, v26
	v_mov_b32_e32 v25, 0
	v_addc_co_u32_e32 v51, vcc, 0, v27, vcc
	v_sub_u32_e32 v24, v24, v53
	s_movk_i32 s14, 0x3b1
	global_store_dwordx4 v[50:51], v[70:73], off offset:448
	global_store_dwordx4 v[50:51], v[66:69], off offset:2608
	v_mad_u64_u32 v[50:51], s[14:15], v52, s14, v[24:25]
	s_movk_i32 s26, 0x3000
	v_add_co_u32_e32 v26, vcc, s26, v26
	v_addc_co_u32_e32 v27, vcc, 0, v27, vcc
	v_mov_b32_e32 v51, v25
	global_store_dwordx4 v[26:27], v[62:65], off offset:672
	v_lshlrev_b64 v[26:27], 4, v[50:51]
	v_add_u32_e32 v24, 0x87, v50
	v_add_co_u32_e32 v26, vcc, v28, v26
	v_addc_co_u32_e32 v27, vcc, v29, v27, vcc
	global_store_dwordx4 v[26:27], v[38:41], off
	v_lshlrev_b64 v[26:27], 4, v[24:25]
	v_add_u32_e32 v24, 0x10e, v50
	v_add_co_u32_e32 v26, vcc, v28, v26
	v_addc_co_u32_e32 v27, vcc, v29, v27, vcc
	global_store_dwordx4 v[26:27], v[58:61], off
	;; [unrolled: 5-line block ×6, first 2 shown]
	v_lshlrev_b64 v[26:27], 4, v[24:25]
	v_add_co_u32_e32 v26, vcc, v28, v26
	v_addc_co_u32_e32 v27, vcc, v29, v27, vcc
	global_store_dwordx4 v[26:27], v[42:45], off
	v_add_u32_e32 v26, 0x7e, v108
	v_cmp_gt_u32_e32 vcc, s27, v26
	s_and_b64 exec, exec, vcc
	s_cbranch_execz .LBB0_20
; %bb.19:
	v_add_u32_e32 v24, -9, v108
	v_cndmask_b32_e64 v24, v24, v109, s[0:1]
	v_mul_i32_i24_e32 v24, 6, v24
	v_lshlrev_b64 v[30:31], 4, v[24:25]
	v_mov_b32_e32 v24, s9
	v_add_co_u32_e32 v54, vcc, s8, v30
	v_addc_co_u32_e32 v55, vcc, v24, v31, vcc
	global_load_dwordx4 v[30:33], v[54:55], off offset:2112
	global_load_dwordx4 v[34:37], v[54:55], off offset:2128
	;; [unrolled: 1-line block ×6, first 2 shown]
	v_mov_b32_e32 v27, v25
	v_lshlrev_b64 v[26:27], 4, v[26:27]
	v_add_u32_e32 v24, 0x105, v108
	v_add_co_u32_e32 v26, vcc, v28, v26
	v_lshlrev_b64 v[54:55], 4, v[24:25]
	v_addc_co_u32_e32 v27, vcc, v29, v27, vcc
	v_add_u32_e32 v24, 0x18c, v108
	v_lshlrev_b64 v[56:57], 4, v[24:25]
	v_add_co_u32_e32 v54, vcc, v28, v54
	v_add_u32_e32 v24, 0x213, v108
	v_addc_co_u32_e32 v55, vcc, v29, v55, vcc
	v_lshlrev_b64 v[58:59], 4, v[24:25]
	v_add_co_u32_e32 v56, vcc, v28, v56
	v_add_u32_e32 v24, 0x29a, v108
	v_addc_co_u32_e32 v57, vcc, v29, v57, vcc
	;; [unrolled: 4-line block ×3, first 2 shown]
	v_lshlrev_b64 v[62:63], 4, v[24:25]
	v_add_u32_e32 v24, 0x3a8, v108
	s_waitcnt vmcnt(5)
	v_mul_f64 v[64:65], v[14:15], v[32:33]
	v_mul_f64 v[32:33], v[2:3], v[32:33]
	s_waitcnt vmcnt(4)
	v_mul_f64 v[66:67], v[20:21], v[36:37]
	v_mul_f64 v[36:37], v[8:9], v[36:37]
	;; [unrolled: 3-line block ×4, first 2 shown]
	v_mul_f64 v[68:69], v[22:23], v[40:41]
	v_mul_f64 v[40:41], v[10:11], v[40:41]
	;; [unrolled: 1-line block ×4, first 2 shown]
	v_fma_f64 v[2:3], v[2:3], v[30:31], -v[64:65]
	v_fma_f64 v[14:15], v[14:15], v[30:31], v[32:33]
	v_fma_f64 v[8:9], v[8:9], v[34:35], -v[66:67]
	v_fma_f64 v[20:21], v[20:21], v[34:35], v[36:37]
	;; [unrolled: 2-line block ×6, first 2 shown]
	v_add_f64 v[34:35], v[2:3], v[30:31]
	v_add_f64 v[36:37], v[14:15], v[32:33]
	v_add_f64 v[2:3], v[2:3], -v[30:31]
	v_add_f64 v[14:15], v[14:15], -v[32:33]
	v_add_f64 v[30:31], v[8:9], v[6:7]
	v_add_f64 v[32:33], v[20:21], v[18:19]
	v_add_f64 v[6:7], v[8:9], -v[6:7]
	v_add_f64 v[8:9], v[20:21], -v[18:19]
	;; [unrolled: 4-line block ×4, first 2 shown]
	v_add_f64 v[34:35], v[34:35], -v[18:19]
	v_add_f64 v[36:37], v[36:37], -v[20:21]
	;; [unrolled: 1-line block ×4, first 2 shown]
	v_add_f64 v[42:43], v[4:5], v[6:7]
	v_add_f64 v[44:45], v[10:11], v[8:9]
	v_add_f64 v[46:47], v[4:5], -v[6:7]
	v_add_f64 v[48:49], v[10:11], -v[8:9]
	v_add_f64 v[16:17], v[18:19], v[16:17]
	v_add_f64 v[18:19], v[20:21], v[22:23]
	v_add_f64 v[6:7], v[6:7], -v[2:3]
	v_add_f64 v[8:9], v[8:9], -v[14:15]
	;; [unrolled: 1-line block ×4, first 2 shown]
	v_add_f64 v[20:21], v[42:43], v[2:3]
	v_add_f64 v[14:15], v[44:45], v[14:15]
	v_mul_f64 v[22:23], v[34:35], s[20:21]
	v_mul_f64 v[34:35], v[36:37], s[20:21]
	;; [unrolled: 1-line block ×6, first 2 shown]
	v_add_f64 v[0:1], v[0:1], v[16:17]
	v_add_f64 v[2:3], v[12:13], v[18:19]
	v_mul_f64 v[48:49], v[6:7], s[12:13]
	v_mul_f64 v[50:51], v[8:9], s[12:13]
	v_fma_f64 v[12:13], v[30:31], s[16:17], v[22:23]
	v_fma_f64 v[30:31], v[32:33], s[16:17], v[34:35]
	v_fma_f64 v[32:33], v[38:39], s[24:25], -v[36:37]
	v_fma_f64 v[36:37], v[40:41], s[24:25], -v[42:43]
	;; [unrolled: 1-line block ×4, first 2 shown]
	v_fma_f64 v[38:39], v[4:5], s[6:7], v[44:45]
	v_fma_f64 v[40:41], v[10:11], s[6:7], v[46:47]
	;; [unrolled: 1-line block ×4, first 2 shown]
	v_fma_f64 v[6:7], v[6:7], s[12:13], -v[44:45]
	v_fma_f64 v[8:9], v[8:9], s[12:13], -v[46:47]
	;; [unrolled: 1-line block ×4, first 2 shown]
	v_fma_f64 v[38:39], v[20:21], s[2:3], v[38:39]
	v_fma_f64 v[40:41], v[14:15], s[2:3], v[40:41]
	v_add_f64 v[48:49], v[12:13], v[16:17]
	v_add_f64 v[30:31], v[30:31], v[18:19]
	v_fma_f64 v[42:43], v[20:21], s[2:3], v[6:7]
	v_fma_f64 v[44:45], v[14:15], s[2:3], v[8:9]
	;; [unrolled: 1-line block ×4, first 2 shown]
	v_add_f64 v[12:13], v[32:33], v[16:17]
	v_add_f64 v[14:15], v[36:37], v[18:19]
	;; [unrolled: 1-line block ×4, first 2 shown]
	global_store_dwordx4 v[26:27], v[0:3], off
	v_add_co_u32_e32 v32, vcc, v28, v60
	v_add_f64 v[0:1], v[40:41], v[48:49]
	v_add_f64 v[2:3], v[30:31], -v[38:39]
	v_add_f64 v[8:9], v[12:13], -v[44:45]
	v_add_f64 v[4:5], v[46:47], v[16:17]
	v_add_f64 v[6:7], v[18:19], -v[20:21]
	v_add_f64 v[10:11], v[42:43], v[14:15]
	;; [unrolled: 2-line block ×3, first 2 shown]
	v_add_f64 v[12:13], v[44:45], v[12:13]
	v_add_f64 v[14:15], v[14:15], -v[42:43]
	v_add_f64 v[20:21], v[48:49], -v[40:41]
	v_add_f64 v[22:23], v[38:39], v[30:31]
	v_addc_co_u32_e32 v33, vcc, v29, v61, vcc
	global_store_dwordx4 v[54:55], v[0:3], off
	global_store_dwordx4 v[56:57], v[4:7], off
	;; [unrolled: 1-line block ×4, first 2 shown]
	v_add_co_u32_e32 v0, vcc, v28, v62
	v_addc_co_u32_e32 v1, vcc, v29, v63, vcc
	global_store_dwordx4 v[0:1], v[16:19], off
	v_lshlrev_b64 v[0:1], 4, v[24:25]
	v_add_co_u32_e32 v0, vcc, v28, v0
	v_addc_co_u32_e32 v1, vcc, v29, v1, vcc
	global_store_dwordx4 v[0:1], v[20:23], off
.LBB0_20:
	s_endpgm
	.section	.rodata,"a",@progbits
	.p2align	6, 0x0
	.amdhsa_kernel fft_rtc_fwd_len945_factors_3_3_3_5_7_wgs_63_tpt_63_halfLds_dp_op_CI_CI_unitstride_sbrr_dirReg
		.amdhsa_group_segment_fixed_size 0
		.amdhsa_private_segment_fixed_size 0
		.amdhsa_kernarg_size 104
		.amdhsa_user_sgpr_count 6
		.amdhsa_user_sgpr_private_segment_buffer 1
		.amdhsa_user_sgpr_dispatch_ptr 0
		.amdhsa_user_sgpr_queue_ptr 0
		.amdhsa_user_sgpr_kernarg_segment_ptr 1
		.amdhsa_user_sgpr_dispatch_id 0
		.amdhsa_user_sgpr_flat_scratch_init 0
		.amdhsa_user_sgpr_private_segment_size 0
		.amdhsa_uses_dynamic_stack 0
		.amdhsa_system_sgpr_private_segment_wavefront_offset 0
		.amdhsa_system_sgpr_workgroup_id_x 1
		.amdhsa_system_sgpr_workgroup_id_y 0
		.amdhsa_system_sgpr_workgroup_id_z 0
		.amdhsa_system_sgpr_workgroup_info 0
		.amdhsa_system_vgpr_workitem_id 0
		.amdhsa_next_free_vgpr 162
		.amdhsa_next_free_sgpr 28
		.amdhsa_reserve_vcc 1
		.amdhsa_reserve_flat_scratch 0
		.amdhsa_float_round_mode_32 0
		.amdhsa_float_round_mode_16_64 0
		.amdhsa_float_denorm_mode_32 3
		.amdhsa_float_denorm_mode_16_64 3
		.amdhsa_dx10_clamp 1
		.amdhsa_ieee_mode 1
		.amdhsa_fp16_overflow 0
		.amdhsa_exception_fp_ieee_invalid_op 0
		.amdhsa_exception_fp_denorm_src 0
		.amdhsa_exception_fp_ieee_div_zero 0
		.amdhsa_exception_fp_ieee_overflow 0
		.amdhsa_exception_fp_ieee_underflow 0
		.amdhsa_exception_fp_ieee_inexact 0
		.amdhsa_exception_int_div_zero 0
	.end_amdhsa_kernel
	.text
.Lfunc_end0:
	.size	fft_rtc_fwd_len945_factors_3_3_3_5_7_wgs_63_tpt_63_halfLds_dp_op_CI_CI_unitstride_sbrr_dirReg, .Lfunc_end0-fft_rtc_fwd_len945_factors_3_3_3_5_7_wgs_63_tpt_63_halfLds_dp_op_CI_CI_unitstride_sbrr_dirReg
                                        ; -- End function
	.section	.AMDGPU.csdata,"",@progbits
; Kernel info:
; codeLenInByte = 11872
; NumSgprs: 32
; NumVgprs: 162
; ScratchSize: 0
; MemoryBound: 1
; FloatMode: 240
; IeeeMode: 1
; LDSByteSize: 0 bytes/workgroup (compile time only)
; SGPRBlocks: 3
; VGPRBlocks: 40
; NumSGPRsForWavesPerEU: 32
; NumVGPRsForWavesPerEU: 162
; Occupancy: 1
; WaveLimiterHint : 1
; COMPUTE_PGM_RSRC2:SCRATCH_EN: 0
; COMPUTE_PGM_RSRC2:USER_SGPR: 6
; COMPUTE_PGM_RSRC2:TRAP_HANDLER: 0
; COMPUTE_PGM_RSRC2:TGID_X_EN: 1
; COMPUTE_PGM_RSRC2:TGID_Y_EN: 0
; COMPUTE_PGM_RSRC2:TGID_Z_EN: 0
; COMPUTE_PGM_RSRC2:TIDIG_COMP_CNT: 0
	.type	__hip_cuid_4e571345b1258ac2,@object ; @__hip_cuid_4e571345b1258ac2
	.section	.bss,"aw",@nobits
	.globl	__hip_cuid_4e571345b1258ac2
__hip_cuid_4e571345b1258ac2:
	.byte	0                               ; 0x0
	.size	__hip_cuid_4e571345b1258ac2, 1

	.ident	"AMD clang version 19.0.0git (https://github.com/RadeonOpenCompute/llvm-project roc-6.4.0 25133 c7fe45cf4b819c5991fe208aaa96edf142730f1d)"
	.section	".note.GNU-stack","",@progbits
	.addrsig
	.addrsig_sym __hip_cuid_4e571345b1258ac2
	.amdgpu_metadata
---
amdhsa.kernels:
  - .args:
      - .actual_access:  read_only
        .address_space:  global
        .offset:         0
        .size:           8
        .value_kind:     global_buffer
      - .offset:         8
        .size:           8
        .value_kind:     by_value
      - .actual_access:  read_only
        .address_space:  global
        .offset:         16
        .size:           8
        .value_kind:     global_buffer
      - .actual_access:  read_only
        .address_space:  global
        .offset:         24
        .size:           8
        .value_kind:     global_buffer
      - .actual_access:  read_only
        .address_space:  global
        .offset:         32
        .size:           8
        .value_kind:     global_buffer
      - .offset:         40
        .size:           8
        .value_kind:     by_value
      - .actual_access:  read_only
        .address_space:  global
        .offset:         48
        .size:           8
        .value_kind:     global_buffer
      - .actual_access:  read_only
        .address_space:  global
        .offset:         56
        .size:           8
        .value_kind:     global_buffer
      - .offset:         64
        .size:           4
        .value_kind:     by_value
      - .actual_access:  read_only
        .address_space:  global
        .offset:         72
        .size:           8
        .value_kind:     global_buffer
      - .actual_access:  read_only
        .address_space:  global
        .offset:         80
        .size:           8
        .value_kind:     global_buffer
      - .actual_access:  read_only
        .address_space:  global
        .offset:         88
        .size:           8
        .value_kind:     global_buffer
      - .actual_access:  write_only
        .address_space:  global
        .offset:         96
        .size:           8
        .value_kind:     global_buffer
    .group_segment_fixed_size: 0
    .kernarg_segment_align: 8
    .kernarg_segment_size: 104
    .language:       OpenCL C
    .language_version:
      - 2
      - 0
    .max_flat_workgroup_size: 63
    .name:           fft_rtc_fwd_len945_factors_3_3_3_5_7_wgs_63_tpt_63_halfLds_dp_op_CI_CI_unitstride_sbrr_dirReg
    .private_segment_fixed_size: 0
    .sgpr_count:     32
    .sgpr_spill_count: 0
    .symbol:         fft_rtc_fwd_len945_factors_3_3_3_5_7_wgs_63_tpt_63_halfLds_dp_op_CI_CI_unitstride_sbrr_dirReg.kd
    .uniform_work_group_size: 1
    .uses_dynamic_stack: false
    .vgpr_count:     162
    .vgpr_spill_count: 0
    .wavefront_size: 64
amdhsa.target:   amdgcn-amd-amdhsa--gfx906
amdhsa.version:
  - 1
  - 2
...

	.end_amdgpu_metadata
